;; amdgpu-corpus repo=ROCm/rocFFT kind=compiled arch=gfx906 opt=O3
	.text
	.amdgcn_target "amdgcn-amd-amdhsa--gfx906"
	.amdhsa_code_object_version 6
	.protected	bluestein_single_back_len119_dim1_half_op_CI_CI ; -- Begin function bluestein_single_back_len119_dim1_half_op_CI_CI
	.globl	bluestein_single_back_len119_dim1_half_op_CI_CI
	.p2align	8
	.type	bluestein_single_back_len119_dim1_half_op_CI_CI,@function
bluestein_single_back_len119_dim1_half_op_CI_CI: ; @bluestein_single_back_len119_dim1_half_op_CI_CI
; %bb.0:
	v_mul_u32_u24_e32 v1, 0xf10, v0
	s_load_dwordx4 s[0:3], s[4:5], 0x28
	v_lshrrev_b32_e32 v1, 16, v1
	v_mad_u64_u32 v[4:5], s[6:7], s6, 15, v[1:2]
	v_mov_b32_e32 v5, 0
	s_waitcnt lgkmcnt(0)
	v_cmp_gt_u64_e32 vcc, s[0:1], v[4:5]
	s_and_saveexec_b64 s[0:1], vcc
	s_cbranch_execz .LBB0_15
; %bb.1:
	s_mov_b32 s0, 0x88888889
	v_mul_hi_u32 v2, v4, s0
	s_load_dwordx2 s[6:7], s[4:5], 0x0
	s_load_dwordx2 s[12:13], s[4:5], 0x38
	v_mul_lo_u16_e32 v1, 17, v1
	v_sub_u16_e32 v24, v0, v1
	v_lshrrev_b32_e32 v2, 3, v2
	v_mul_lo_u32 v2, v2, 15
	v_cmp_gt_u16_e32 vcc, 7, v24
	v_lshlrev_b32_e32 v25, 2, v24
	v_or_b32_e32 v26, 56, v24
	v_sub_u32_e32 v0, v4, v2
	v_mul_u32_u24_e32 v9, 0x77, v0
	v_lshlrev_b32_e32 v27, 2, v9
	s_and_saveexec_b64 s[14:15], vcc
	s_cbranch_execz .LBB0_3
; %bb.2:
	s_load_dwordx2 s[0:1], s[4:5], 0x18
	v_lshl_add_u32 v28, v24, 2, v27
	v_add_u32_e32 v29, v27, v25
	s_waitcnt lgkmcnt(0)
	s_load_dwordx4 s[8:11], s[0:1], 0x0
	s_waitcnt lgkmcnt(0)
	v_mad_u64_u32 v[0:1], s[0:1], s10, v4, 0
	v_mad_u64_u32 v[2:3], s[0:1], s8, v24, 0
	;; [unrolled: 1-line block ×4, first 2 shown]
	v_mov_b32_e32 v1, v5
	v_lshlrev_b64 v[0:1], 2, v[0:1]
	v_mov_b32_e32 v3, v6
	v_mov_b32_e32 v7, s3
	v_lshlrev_b64 v[2:3], 2, v[2:3]
	v_add_co_u32_e64 v8, s[0:1], s2, v0
	v_addc_co_u32_e64 v12, s[0:1], v7, v1, s[0:1]
	v_add_co_u32_e64 v0, s[0:1], v8, v2
	v_addc_co_u32_e64 v1, s[0:1], v12, v3, s[0:1]
	s_mul_i32 s0, s9, 28
	s_mul_hi_u32 s2, s8, 28
	s_add_i32 s2, s2, s0
	s_mul_i32 s3, s8, 28
	v_mov_b32_e32 v3, s2
	v_add_co_u32_e64 v2, s[0:1], s3, v0
	v_addc_co_u32_e64 v3, s[0:1], v1, v3, s[0:1]
	global_load_dword v10, v[0:1], off
	global_load_dword v11, v[2:3], off
	global_load_dword v13, v25, s[6:7]
	global_load_dword v14, v25, s[6:7] offset:28
	v_mov_b32_e32 v1, s2
	v_add_co_u32_e64 v0, s[0:1], s3, v2
	v_addc_co_u32_e64 v1, s[0:1], v3, v1, s[0:1]
	global_load_dword v15, v[0:1], off
	global_load_dword v16, v25, s[6:7] offset:56
	v_mov_b32_e32 v2, s2
	v_add_co_u32_e64 v0, s[0:1], s3, v0
	v_addc_co_u32_e64 v1, s[0:1], v1, v2, s[0:1]
	global_load_dword v17, v[0:1], off
	global_load_dword v18, v25, s[6:7] offset:84
	v_add_co_u32_e64 v0, s[0:1], s3, v0
	v_addc_co_u32_e64 v1, s[0:1], v1, v2, s[0:1]
	v_mad_u64_u32 v[2:3], s[0:1], s8, v26, 0
	global_load_dword v19, v[0:1], off
	global_load_dword v20, v25, s[6:7] offset:112
	global_load_dword v21, v25, s[6:7] offset:140
	;; [unrolled: 1-line block ×4, first 2 shown]
	v_mov_b32_e32 v7, s2
	v_mad_u64_u32 v[5:6], s[0:1], s9, v26, v[3:4]
	v_add_co_u32_e64 v0, s[0:1], s3, v0
	v_addc_co_u32_e64 v1, s[0:1], v1, v7, s[0:1]
	v_mov_b32_e32 v30, s2
	v_add_co_u32_e64 v6, s[0:1], s3, v0
	v_addc_co_u32_e64 v7, s[0:1], v1, v30, s[0:1]
	v_mov_b32_e32 v31, s2
	global_load_dword v30, v[0:1], off
	v_add_co_u32_e64 v0, s[0:1], s3, v6
	v_addc_co_u32_e64 v1, s[0:1], v7, v31, s[0:1]
	s_waitcnt vmcnt(13)
	v_lshrrev_b32_e32 v3, 16, v10
	s_waitcnt vmcnt(12)
	v_lshrrev_b32_e32 v32, 16, v11
	s_waitcnt vmcnt(11)
	v_mul_f16_sdwa v31, v13, v10 dst_sel:DWORD dst_unused:UNUSED_PAD src0_sel:WORD_1 src1_sel:DWORD
	v_fma_f16 v31, v13, v3, -v31
	v_mul_f16_sdwa v3, v13, v3 dst_sel:DWORD dst_unused:UNUSED_PAD src0_sel:WORD_1 src1_sel:DWORD
	s_waitcnt vmcnt(10)
	v_mul_f16_sdwa v33, v14, v11 dst_sel:DWORD dst_unused:UNUSED_PAD src0_sel:WORD_1 src1_sel:DWORD
	v_fma_f16 v3, v13, v10, v3
	v_fma_f16 v10, v14, v32, -v33
	v_mul_f16_sdwa v13, v14, v32 dst_sel:DWORD dst_unused:UNUSED_PAD src0_sel:WORD_1 src1_sel:DWORD
	s_waitcnt vmcnt(9)
	v_lshrrev_b32_e32 v32, 16, v15
	s_waitcnt vmcnt(8)
	v_mul_f16_sdwa v33, v16, v15 dst_sel:DWORD dst_unused:UNUSED_PAD src0_sel:WORD_1 src1_sel:DWORD
	v_fma_f16 v11, v14, v11, v13
	v_pack_b32_f16 v3, v3, v31
	v_mul_f16_sdwa v14, v16, v32 dst_sel:DWORD dst_unused:UNUSED_PAD src0_sel:WORD_1 src1_sel:DWORD
	v_fma_f16 v13, v16, v32, -v33
	s_waitcnt vmcnt(7)
	v_lshrrev_b32_e32 v31, 16, v17
	ds_write_b32 v28, v3
	v_fma_f16 v3, v16, v15, v14
	v_pack_b32_f16 v10, v11, v10
	s_waitcnt vmcnt(6)
	v_mul_f16_sdwa v11, v18, v31 dst_sel:DWORD dst_unused:UNUSED_PAD src0_sel:WORD_1 src1_sel:DWORD
	v_pack_b32_f16 v3, v3, v13
	v_fma_f16 v16, v18, v17, v11
	ds_write2_b32 v29, v10, v3 offset0:7 offset1:14
	v_mad_u64_u32 v[10:11], s[0:1], s8, 56, v[0:1]
	global_load_dword v13, v[6:7], off
	v_mov_b32_e32 v3, v5
	v_lshlrev_b64 v[2:3], 2, v[2:3]
	v_mov_b32_e32 v5, v11
	v_mad_u64_u32 v[5:6], s[0:1], s9, 56, v[5:6]
	v_mul_f16_sdwa v32, v18, v17 dst_sel:DWORD dst_unused:UNUSED_PAD src0_sel:WORD_1 src1_sel:DWORD
	v_add_co_u32_e64 v2, s[0:1], v8, v2
	v_fma_f16 v14, v18, v31, -v32
	v_addc_co_u32_e64 v3, s[0:1], v12, v3, s[0:1]
	global_load_dword v17, v[0:1], off
	global_load_dword v18, v[2:3], off
	v_mov_b32_e32 v11, v5
	v_or_b32_e32 v5, 0x70, v24
	v_mad_u64_u32 v[0:1], s[0:1], s8, v5, 0
	v_mov_b32_e32 v3, s2
	v_add_co_u32_e64 v2, s[0:1], s3, v10
	v_addc_co_u32_e64 v3, s[0:1], v11, v3, s[0:1]
	global_load_dword v28, v[10:11], off
	global_load_dword v31, v25, s[6:7] offset:224
	global_load_dword v32, v25, s[6:7] offset:252
	;; [unrolled: 1-line block ×8, first 2 shown]
	global_load_dword v10, v[2:3], off
	v_mov_b32_e32 v6, s2
	v_add_co_u32_e64 v2, s[0:1], s3, v2
	v_addc_co_u32_e64 v3, s[0:1], v3, v6, s[0:1]
	global_load_dword v11, v[2:3], off
	v_add_co_u32_e64 v2, s[0:1], s3, v2
	v_addc_co_u32_e64 v3, s[0:1], v3, v6, s[0:1]
	global_load_dword v39, v[2:3], off
	v_mad_u64_u32 v[5:6], s[0:1], s9, v5, v[1:2]
	v_mov_b32_e32 v6, s2
	v_add_co_u32_e64 v1, s[0:1], s3, v2
	v_addc_co_u32_e64 v2, s[0:1], v3, v6, s[0:1]
	global_load_dword v40, v[1:2], off
	v_mov_b32_e32 v3, s2
	v_add_co_u32_e64 v6, s[0:1], s3, v1
	v_addc_co_u32_e64 v7, s[0:1], v2, v3, s[0:1]
	global_load_dword v41, v[6:7], off
	v_add_co_u32_e64 v2, s[0:1], s3, v6
	v_addc_co_u32_e64 v3, s[0:1], v7, v3, s[0:1]
	v_mov_b32_e32 v1, v5
	global_load_dword v2, v[2:3], off
	v_lshlrev_b64 v[0:1], 2, v[0:1]
	s_waitcnt vmcnt(23)
	v_lshrrev_b32_e32 v15, 16, v19
	v_add_co_u32_e64 v0, s[0:1], v8, v0
	v_addc_co_u32_e64 v1, s[0:1], v12, v1, s[0:1]
	global_load_dword v3, v[0:1], off
	global_load_dword v5, v25, s[6:7] offset:448
	s_waitcnt vmcnt(24)
	v_mul_f16_sdwa v0, v20, v19 dst_sel:DWORD dst_unused:UNUSED_PAD src0_sel:WORD_1 src1_sel:DWORD
	v_mul_f16_sdwa v1, v20, v15 dst_sel:DWORD dst_unused:UNUSED_PAD src0_sel:WORD_1 src1_sel:DWORD
	v_fma_f16 v0, v20, v15, -v0
	v_fma_f16 v1, v20, v19, v1
	v_pack_b32_f16 v6, v16, v14
	v_pack_b32_f16 v0, v1, v0
	ds_write2_b32 v29, v6, v0 offset0:21 offset1:28
	s_waitcnt vmcnt(20)
	v_lshrrev_b32_e32 v0, 16, v30
	v_mul_f16_sdwa v1, v21, v0 dst_sel:DWORD dst_unused:UNUSED_PAD src0_sel:WORD_1 src1_sel:DWORD
	v_mul_f16_sdwa v6, v21, v30 dst_sel:DWORD dst_unused:UNUSED_PAD src0_sel:WORD_1 src1_sel:DWORD
	v_fma_f16 v1, v21, v30, v1
	v_fma_f16 v0, v21, v0, -v6
	v_pack_b32_f16 v0, v1, v0
	s_waitcnt vmcnt(19)
	v_lshrrev_b32_e32 v1, 16, v13
	v_mul_f16_sdwa v6, v22, v1 dst_sel:DWORD dst_unused:UNUSED_PAD src0_sel:WORD_1 src1_sel:DWORD
	v_mul_f16_sdwa v7, v22, v13 dst_sel:DWORD dst_unused:UNUSED_PAD src0_sel:WORD_1 src1_sel:DWORD
	v_fma_f16 v6, v22, v13, v6
	v_fma_f16 v1, v22, v1, -v7
	v_pack_b32_f16 v1, v6, v1
	ds_write2_b32 v29, v0, v1 offset0:35 offset1:42
	s_waitcnt vmcnt(18)
	v_lshrrev_b32_e32 v0, 16, v17
	v_mul_f16_sdwa v1, v23, v0 dst_sel:DWORD dst_unused:UNUSED_PAD src0_sel:WORD_1 src1_sel:DWORD
	v_mul_f16_sdwa v6, v23, v17 dst_sel:DWORD dst_unused:UNUSED_PAD src0_sel:WORD_1 src1_sel:DWORD
	v_fma_f16 v1, v23, v17, v1
	v_fma_f16 v0, v23, v0, -v6
	v_pack_b32_f16 v0, v1, v0
	s_waitcnt vmcnt(17)
	v_lshrrev_b32_e32 v1, 16, v18
	s_waitcnt vmcnt(15)
	v_mul_f16_sdwa v6, v31, v1 dst_sel:DWORD dst_unused:UNUSED_PAD src0_sel:WORD_1 src1_sel:DWORD
	v_mul_f16_sdwa v7, v31, v18 dst_sel:DWORD dst_unused:UNUSED_PAD src0_sel:WORD_1 src1_sel:DWORD
	v_fma_f16 v6, v31, v18, v6
	v_fma_f16 v1, v31, v1, -v7
	v_pack_b32_f16 v1, v6, v1
	ds_write2_b32 v29, v0, v1 offset0:49 offset1:56
	v_lshrrev_b32_e32 v0, 16, v28
	s_waitcnt vmcnt(14)
	v_mul_f16_sdwa v1, v32, v0 dst_sel:DWORD dst_unused:UNUSED_PAD src0_sel:WORD_1 src1_sel:DWORD
	v_mul_f16_sdwa v6, v32, v28 dst_sel:DWORD dst_unused:UNUSED_PAD src0_sel:WORD_1 src1_sel:DWORD
	v_fma_f16 v1, v32, v28, v1
	v_fma_f16 v0, v32, v0, -v6
	v_pack_b32_f16 v0, v1, v0
	s_waitcnt vmcnt(7)
	v_lshrrev_b32_e32 v1, 16, v10
	v_mul_f16_sdwa v6, v33, v1 dst_sel:DWORD dst_unused:UNUSED_PAD src0_sel:WORD_1 src1_sel:DWORD
	v_mul_f16_sdwa v7, v33, v10 dst_sel:DWORD dst_unused:UNUSED_PAD src0_sel:WORD_1 src1_sel:DWORD
	v_fma_f16 v6, v33, v10, v6
	v_fma_f16 v1, v33, v1, -v7
	v_pack_b32_f16 v1, v6, v1
	ds_write2_b32 v29, v0, v1 offset0:63 offset1:70
	s_waitcnt vmcnt(6)
	v_lshrrev_b32_e32 v0, 16, v11
	v_mul_f16_sdwa v1, v34, v0 dst_sel:DWORD dst_unused:UNUSED_PAD src0_sel:WORD_1 src1_sel:DWORD
	v_mul_f16_sdwa v6, v34, v11 dst_sel:DWORD dst_unused:UNUSED_PAD src0_sel:WORD_1 src1_sel:DWORD
	v_fma_f16 v1, v34, v11, v1
	v_fma_f16 v0, v34, v0, -v6
	v_pack_b32_f16 v0, v1, v0
	s_waitcnt vmcnt(5)
	v_lshrrev_b32_e32 v1, 16, v39
	v_mul_f16_sdwa v6, v35, v1 dst_sel:DWORD dst_unused:UNUSED_PAD src0_sel:WORD_1 src1_sel:DWORD
	v_mul_f16_sdwa v7, v35, v39 dst_sel:DWORD dst_unused:UNUSED_PAD src0_sel:WORD_1 src1_sel:DWORD
	v_fma_f16 v6, v35, v39, v6
	v_fma_f16 v1, v35, v1, -v7
	v_pack_b32_f16 v1, v6, v1
	ds_write2_b32 v29, v0, v1 offset0:77 offset1:84
	s_waitcnt vmcnt(4)
	v_lshrrev_b32_e32 v0, 16, v40
	;; [unrolled: 15-line block ×3, first 2 shown]
	v_mul_f16_sdwa v1, v38, v0 dst_sel:DWORD dst_unused:UNUSED_PAD src0_sel:WORD_1 src1_sel:DWORD
	v_fma_f16 v1, v38, v2, v1
	v_mul_f16_sdwa v2, v38, v2 dst_sel:DWORD dst_unused:UNUSED_PAD src0_sel:WORD_1 src1_sel:DWORD
	v_fma_f16 v0, v38, v0, -v2
	v_pack_b32_f16 v0, v1, v0
	s_waitcnt vmcnt(1)
	v_lshrrev_b32_e32 v1, 16, v3
	s_waitcnt vmcnt(0)
	v_mul_f16_sdwa v2, v5, v1 dst_sel:DWORD dst_unused:UNUSED_PAD src0_sel:WORD_1 src1_sel:DWORD
	v_fma_f16 v2, v5, v3, v2
	v_mul_f16_sdwa v3, v5, v3 dst_sel:DWORD dst_unused:UNUSED_PAD src0_sel:WORD_1 src1_sel:DWORD
	v_fma_f16 v1, v5, v1, -v3
	v_pack_b32_f16 v1, v2, v1
	ds_write2_b32 v29, v0, v1 offset0:105 offset1:112
.LBB0_3:
	s_or_b64 exec, exec, s[14:15]
	s_load_dwordx2 s[2:3], s[4:5], 0x20
	s_load_dwordx2 s[0:1], s[4:5], 0x8
	s_waitcnt lgkmcnt(0)
	s_barrier
	s_waitcnt lgkmcnt(0)
                                        ; implicit-def: $vgpr51
                                        ; implicit-def: $vgpr16
                                        ; implicit-def: $vgpr52
                                        ; implicit-def: $vgpr13
                                        ; implicit-def: $vgpr53
                                        ; implicit-def: $vgpr41
                                        ; implicit-def: $vgpr3
                                        ; implicit-def: $vgpr0
                                        ; implicit-def: $vgpr54
                                        ; implicit-def: $vgpr55
                                        ; implicit-def: $vgpr56
                                        ; implicit-def: $vgpr42
                                        ; implicit-def: $vgpr57
                                        ; implicit-def: $vgpr43
                                        ; implicit-def: $vgpr44
                                        ; implicit-def: $vgpr46
                                        ; implicit-def: $vgpr48
                                        ; implicit-def: $vgpr50
                                        ; implicit-def: $vgpr45
                                        ; implicit-def: $vgpr47
                                        ; implicit-def: $vgpr49
                                        ; implicit-def: $vgpr22
                                        ; implicit-def: $vgpr21
                                        ; implicit-def: $vgpr19
                                        ; implicit-def: $vgpr15
	s_and_saveexec_b64 s[4:5], vcc
	s_cbranch_execz .LBB0_5
; %bb.4:
	v_lshl_add_u32 v5, v9, 2, v25
	ds_read2_b32 v[0:1], v5 offset1:7
	ds_read2_b32 v[14:15], v5 offset0:14 offset1:21
	ds_read2_b32 v[18:19], v5 offset0:28 offset1:35
	;; [unrolled: 1-line block ×7, first 2 shown]
	ds_read_b32 v42, v5 offset:448
	s_waitcnt lgkmcnt(8)
	v_lshrrev_b32_e32 v49, 16, v1
	s_waitcnt lgkmcnt(7)
	v_lshrrev_b32_e32 v47, 16, v14
	v_lshrrev_b32_e32 v45, 16, v15
	s_waitcnt lgkmcnt(6)
	v_lshrrev_b32_e32 v50, 16, v18
	;; [unrolled: 3-line block ×8, first 2 shown]
.LBB0_5:
	s_or_b64 exec, exec, s[4:5]
	v_sub_f16_e32 v10, v49, v57
	v_add_f16_e32 v59, v42, v1
	s_movk_i32 s5, 0x39e9
	v_mul_f16_e32 v58, 0xb964, v10
	v_sub_f16_e32 v11, v47, v56
	s_movk_i32 s4, 0x2de8
	v_fma_f16 v5, v59, s5, v58
	v_add_f16_e32 v74, v23, v14
	v_mul_f16_e32 v60, 0xbbf7, v11
	v_add_f16_e32 v5, v5, v0
	v_fma_f16 v6, v74, s4, v60
	s_movk_i32 s9, 0x3722
	v_mul_f16_e32 v63, 0xbb29, v10
	v_add_f16_e32 v5, v6, v5
	s_mov_b32 s8, 0xb8d2
	v_fma_f16 v6, v59, s9, v63
	v_mul_f16_e32 v64, 0xba62, v11
	v_sub_f16_e32 v29, v45, v55
	v_add_f16_e32 v6, v6, v0
	v_fma_f16 v7, v74, s8, v64
	v_add_f16_e32 v78, v22, v15
	v_mul_f16_e32 v61, 0xba62, v29
	v_add_f16_e32 v6, v7, v6
	v_fma_f16 v7, v78, s8, v61
	s_mov_b32 s15, 0xbbdd
	v_mul_f16_e32 v66, 0x31e1, v29
	v_sub_f16_e32 v30, v50, v54
	v_add_f16_e32 v5, v7, v5
	v_fma_f16 v7, v78, s15, v66
	v_add_f16_e32 v79, v17, v18
	v_mul_f16_e32 v62, 0xb1e1, v30
	v_add_f16_e32 v6, v7, v6
	v_fma_f16 v7, v79, s15, v62
	s_mov_b32 s10, 0xb461
	v_mul_f16_e32 v68, 0x3bb2, v30
	v_sub_f16_e32 v31, v48, v51
	v_add_f16_e32 v5, v7, v5
	v_fma_f16 v7, v79, s10, v68
	s_mov_b32 s11, 0xbacd
	v_add_f16_e32 v80, v16, v19
	v_mul_f16_e32 v65, 0x3836, v31
	v_add_f16_e32 v6, v7, v6
	v_fma_f16 v7, v80, s11, v65
	v_mul_f16_e32 v70, 0x3964, v31
	v_sub_f16_e32 v32, v46, v52
	v_add_f16_e32 v5, v7, v5
	v_fma_f16 v7, v80, s5, v70
	v_add_f16_e32 v81, v13, v20
	v_mul_f16_e32 v67, 0x3bb2, v32
	v_add_f16_e32 v6, v7, v6
	v_fma_f16 v7, v81, s10, v67
	s_movk_i32 s14, 0x3b76
	v_mul_f16_e32 v72, 0xb5c8, v32
	v_sub_f16_e32 v33, v44, v53
	v_add_f16_e32 v5, v7, v5
	v_fma_f16 v7, v81, s14, v72
	v_add_f16_e32 v84, v12, v21
	v_mul_f16_e32 v69, 0x3b29, v33
	v_add_f16_e32 v6, v7, v6
	v_fma_f16 v7, v84, s9, v69
	v_mul_f16_e32 v73, 0xbbf7, v33
	v_sub_f16_e32 v183, v43, v41
	v_add_f16_e32 v5, v7, v5
	v_fma_f16 v7, v84, s4, v73
	v_add_f16_e32 v86, v3, v2
	v_mul_f16_e32 v71, 0x35c8, v183
	v_add_f16_e32 v7, v7, v6
	v_fma_f16 v6, v86, s14, v71
	v_mul_f16_e32 v75, 0xb836, v183
	v_add_f16_e32 v6, v6, v5
	v_fma_f16 v5, v86, s11, v75
	;; [unrolled: 3-line block ×7, first 2 shown]
	v_add_f16_e32 v7, v35, v7
	v_mul_f16_e32 v35, 0xbbf7, v29
	v_fma_f16 v36, v78, s4, v35
	v_mul_f16_e32 v93, 0xb836, v30
	v_add_f16_e32 v8, v36, v8
	v_fma_f16 v36, v79, s11, v93
	v_add_f16_e32 v7, v36, v7
	v_mul_f16_e32 v36, 0x3a62, v30
	v_fma_f16 v37, v79, s8, v36
	v_mul_f16_e32 v95, 0x3bf7, v31
	v_add_f16_e32 v8, v37, v8
	v_fma_f16 v37, v80, s4, v95
	;; [unrolled: 6-line block ×5, first 2 shown]
	v_mul_f16_e32 v186, 0xbbb2, v183
	v_add_f16_e32 v8, v8, v7
	v_fma_f16 v7, v86, s10, v186
	v_mul_f16_e32 v76, 0xb5c8, v10
	v_add_f16_e32 v7, v7, v40
	v_fma_f16 v40, v59, s14, v76
	;; [unrolled: 3-line block ×3, first 2 shown]
	v_sub_f16_e32 v129, v1, v42
	v_add_f16_e32 v40, v82, v40
	v_add_f16_e32 v125, v57, v49
	v_mul_f16_e32 v82, 0xb964, v129
	v_fma_f16 v83, v125, s5, -v82
	v_sub_f16_e32 v131, v14, v23
	v_add_f16_sdwa v85, v83, v0 dst_sel:DWORD dst_unused:UNUSED_PAD src0_sel:DWORD src1_sel:WORD_1
	v_add_f16_e32 v122, v56, v47
	v_mul_f16_e32 v83, 0xbbf7, v131
	v_fma_f16 v87, v122, s4, -v83
	v_add_f16_e32 v89, v87, v85
	v_mul_f16_e32 v87, 0xbb29, v129
	v_fma_f16 v85, v125, s9, -v87
	v_mul_f16_e32 v88, 0xba62, v131
	v_add_f16_sdwa v85, v85, v0 dst_sel:DWORD dst_unused:UNUSED_PAD src0_sel:DWORD src1_sel:WORD_1
	v_fma_f16 v94, v122, s8, -v88
	v_mul_f16_e32 v100, 0xbbf7, v129
	v_add_f16_e32 v98, v94, v85
	v_fma_f16 v85, v125, s4, -v100
	v_mul_f16_e32 v101, 0xb1e1, v131
	v_add_f16_sdwa v85, v85, v0 dst_sel:DWORD dst_unused:UNUSED_PAD src0_sel:DWORD src1_sel:WORD_1
	v_fma_f16 v94, v122, s15, -v101
	v_mul_f16_e32 v104, 0xbbb2, v10
	v_add_f16_e32 v102, v94, v85
	v_fma_f16 v85, v59, s10, v104
	v_mul_f16_e32 v105, 0x3836, v11
	v_add_f16_e32 v85, v85, v0
	v_fma_f16 v94, v74, s11, v105
	v_mul_f16_e32 v107, 0xbbb2, v129
	v_add_f16_e32 v106, v94, v85
	v_fma_f16 v85, v125, s10, -v107
	v_mul_f16_e32 v108, 0x3836, v131
	v_add_f16_sdwa v85, v85, v0 dst_sel:DWORD dst_unused:UNUSED_PAD src0_sel:DWORD src1_sel:WORD_1
	v_fma_f16 v94, v122, s11, -v108
	v_mul_f16_e32 v114, 0xba62, v129
	v_fma_f16 v28, v59, s11, -v28
	v_add_f16_e32 v109, v94, v85
	v_fma_f16 v85, v125, s8, -v114
	v_mul_f16_e32 v115, 0x3bb2, v131
	v_fma_f16 v34, v74, s9, -v34
	v_add_f16_e32 v28, v28, v0
	v_add_f16_sdwa v85, v85, v0 dst_sel:DWORD dst_unused:UNUSED_PAD src0_sel:DWORD src1_sel:WORD_1
	v_fma_f16 v94, v122, s10, -v115
	v_add_f16_e32 v28, v34, v28
	v_mul_f16_e32 v34, 0xb836, v129
	v_add_f16_e32 v110, v94, v85
	v_fma_f16 v85, v125, s11, v34
	v_mul_f16_e32 v94, 0x3b29, v131
	v_add_f16_sdwa v85, v85, v0 dst_sel:DWORD dst_unused:UNUSED_PAD src0_sel:DWORD src1_sel:WORD_1
	v_fma_f16 v103, v122, s9, v94
	v_fma_f16 v34, v125, s11, -v34
	v_add_f16_e32 v112, v103, v85
	v_fma_f16 v85, v122, s9, -v94
	v_add_f16_sdwa v34, v34, v0 dst_sel:DWORD dst_unused:UNUSED_PAD src0_sel:DWORD src1_sel:WORD_1
	v_add_f16_e32 v34, v85, v34
	v_mul_f16_e32 v85, 0xb1e1, v129
	v_fma_f16 v94, v125, s15, v85
	v_mul_f16_e32 v103, 0x35c8, v131
	v_add_f16_sdwa v94, v94, v0 dst_sel:DWORD dst_unused:UNUSED_PAD src0_sel:DWORD src1_sel:WORD_1
	v_fma_f16 v111, v122, s14, v103
	v_fma_f16 v85, v125, s15, -v85
	v_add_f16_e32 v116, v111, v94
	v_fma_f16 v94, v122, s14, -v103
	v_add_f16_sdwa v85, v85, v0 dst_sel:DWORD dst_unused:UNUSED_PAD src0_sel:DWORD src1_sel:WORD_1
	v_add_f16_e32 v117, v94, v85
	v_mul_f16_e32 v85, 0xbb29, v29
	v_fma_f16 v94, v78, s9, v85
	v_sub_f16_e32 v134, v15, v22
	v_add_f16_e32 v40, v94, v40
	v_add_f16_e32 v144, v55, v45
	v_mul_f16_e32 v94, 0xba62, v134
	v_fma_f16 v103, v144, s8, -v94
	v_add_f16_e32 v118, v103, v89
	v_mul_f16_e32 v103, 0x31e1, v134
	v_fma_f16 v89, v144, s15, -v103
	v_mul_f16_e32 v111, 0x3bb2, v134
	v_add_f16_e32 v98, v89, v98
	v_fma_f16 v89, v144, s10, -v111
	v_mul_f16_e32 v113, 0x3964, v29
	v_add_f16_e32 v120, v89, v102
	v_fma_f16 v89, v78, s5, v113
	v_mul_f16_e32 v119, 0x3964, v134
	v_add_f16_e32 v106, v89, v106
	v_fma_f16 v89, v144, s5, -v119
	v_mul_f16_e32 v128, 0xb5c8, v134
	v_fma_f16 v35, v78, s4, -v35
	v_add_f16_e32 v109, v89, v109
	v_fma_f16 v89, v144, s14, -v128
	v_add_f16_e32 v28, v35, v28
	v_mul_f16_e32 v35, 0xbbf7, v134
	v_add_f16_e32 v123, v89, v110
	v_fma_f16 v89, v144, s4, v35
	v_fma_f16 v35, v144, s4, -v35
	v_add_f16_e32 v34, v35, v34
	v_mul_f16_e32 v35, 0xb836, v134
	v_add_f16_e32 v112, v89, v112
	v_fma_f16 v89, v144, s11, v35
	v_add_f16_e32 v116, v89, v116
	v_mul_f16_e32 v89, 0xbbf7, v30
	v_fma_f16 v102, v79, s4, v89
	v_sub_f16_e32 v137, v18, v17
	v_add_f16_e32 v40, v102, v40
	v_add_f16_e32 v154, v54, v50
	v_mul_f16_e32 v102, 0xb1e1, v137
	v_fma_f16 v35, v144, s11, -v35
	v_fma_f16 v110, v154, s15, -v102
	v_add_f16_e32 v35, v35, v117
	v_add_f16_e32 v117, v110, v118
	v_mul_f16_e32 v110, 0x3bb2, v137
	v_fma_f16 v118, v154, s10, -v110
	v_add_f16_e32 v124, v118, v98
	v_mul_f16_e32 v118, 0x35c8, v137
	v_fma_f16 v98, v154, s14, -v118
	v_mul_f16_e32 v121, 0xbb29, v30
	v_add_f16_e32 v120, v98, v120
	v_fma_f16 v98, v79, s9, v121
	v_mul_f16_e32 v127, 0xbb29, v137
	v_add_f16_e32 v106, v98, v106
	v_fma_f16 v98, v154, s9, -v127
	v_mul_f16_e32 v141, 0xb836, v137
	v_fma_f16 v36, v79, s8, -v36
	v_add_f16_e32 v130, v98, v109
	v_fma_f16 v98, v154, s11, -v141
	v_add_f16_e32 v28, v36, v28
	v_mul_f16_e32 v36, 0x3a62, v137
	v_add_f16_e32 v123, v98, v123
	v_fma_f16 v98, v154, s8, v36
	v_fma_f16 v36, v154, s8, -v36
	v_add_f16_e32 v34, v36, v34
	v_mul_f16_e32 v36, 0x3964, v137
	v_add_f16_e32 v112, v98, v112
	v_fma_f16 v98, v154, s5, v36
	v_add_f16_e32 v116, v98, v116
	v_fma_f16 v36, v154, s5, -v36
	v_mul_f16_e32 v98, 0xbbb2, v31
	v_add_f16_e32 v35, v36, v35
	v_fma_f16 v36, v80, s10, v98
	v_add_f16_e32 v36, v36, v40
	v_sub_f16_e32 v40, v19, v16
	v_add_f16_e32 v159, v51, v48
	v_mul_f16_e32 v109, 0x3836, v40
	v_fma_f16 v126, v159, s11, -v109
	v_add_f16_e32 v133, v126, v117
	v_mul_f16_e32 v117, 0x3964, v40
	v_fma_f16 v126, v159, s5, -v117
	v_add_f16_e32 v135, v126, v124
	v_mul_f16_e32 v126, 0xbb29, v40
	v_fma_f16 v124, v159, s9, -v126
	v_mul_f16_e32 v132, 0xb1e1, v31
	v_add_f16_e32 v120, v124, v120
	v_fma_f16 v124, v80, s15, v132
	v_mul_f16_e32 v140, 0xb1e1, v40
	v_add_f16_e32 v136, v124, v106
	v_fma_f16 v106, v159, s15, -v140
	v_mul_f16_e32 v155, 0x3bf7, v40
	v_fma_f16 v37, v80, s14, -v37
	v_add_f16_e32 v130, v106, v130
	v_fma_f16 v106, v159, s4, -v155
	v_add_f16_e32 v28, v37, v28
	v_mul_f16_e32 v37, 0xb5c8, v40
	v_add_f16_e32 v123, v106, v123
	v_fma_f16 v106, v159, s14, v37
	v_fma_f16 v37, v159, s14, -v37
	v_add_f16_e32 v34, v37, v34
	v_mul_f16_e32 v37, 0xba62, v40
	v_add_f16_e32 v112, v106, v112
	v_fma_f16 v106, v159, s8, v37
	v_add_f16_e32 v139, v106, v116
	v_fma_f16 v37, v159, s8, -v37
	v_mul_f16_e32 v106, 0xba62, v32
	v_add_f16_e32 v35, v37, v35
	v_fma_f16 v37, v81, s8, v106
	v_add_f16_e32 v36, v37, v36
	v_sub_f16_e32 v37, v20, v13
	v_add_f16_e32 v169, v52, v46
	v_mul_f16_e32 v116, 0x3bb2, v37
	v_fma_f16 v124, v169, s10, -v116
	;; [unrolled: 35-line block ×3, first 2 shown]
	v_add_f16_e32 v177, v136, v133
	v_mul_f16_e32 v136, 0xbbf7, v38
	v_fma_f16 v133, v178, s4, -v136
	v_mul_f16_e32 v150, 0x3a62, v38
	v_add_f16_e32 v181, v133, v135
	v_fma_f16 v133, v178, s8, -v150
	v_mul_f16_e32 v156, 0xb5c8, v33
	v_fma_f16 v39, v84, s5, -v39
	v_add_f16_e32 v182, v133, v120
	v_fma_f16 v120, v84, s14, v156
	v_mul_f16_e32 v162, 0xb5c8, v38
	v_add_f16_e32 v189, v39, v28
	v_mul_f16_e32 v28, 0x3964, v38
	v_add_f16_e32 v187, v120, v142
	v_fma_f16 v120, v178, s14, -v162
	v_mul_f16_e32 v174, 0xb1e1, v38
	v_fma_f16 v39, v178, s5, v28
	v_fma_f16 v28, v178, s5, -v28
	v_add_f16_e32 v185, v120, v130
	v_fma_f16 v120, v178, s15, -v174
	v_add_f16_e32 v190, v28, v34
	v_mul_f16_e32 v28, 0xbbb2, v38
	v_add_f16_e32 v188, v120, v143
	v_fma_f16 v34, v178, s10, v28
	v_fma_f16 v28, v178, s10, -v28
	v_mul_f16_e32 v120, 0xb1e1, v183
	v_add_f16_e32 v192, v28, v35
	v_fma_f16 v28, v86, s15, v120
	s_mov_b32 s15, 0x2de8bbdd
	s_mov_b32 s16, 0xbbf7b1e1
	v_mul_f16_e32 v129, 0xb5c8, v129
	v_pk_mul_f16 v157, v10, s16 op_sel_hi:[0,1]
	v_mul_f16_e32 v130, 0x3b76, v125
	v_pk_mul_f16 v158, v59, s15 op_sel_hi:[0,1]
	s_mov_b32 s16, 0xbbdd3b76
	s_mov_b32 s17, 0xb1e135c8
	v_add_f16_e32 v191, v34, v139
	v_pack_b32_f16 v10, v130, v158
	v_pack_b32_f16 v34, v129, v157
	v_mul_f16_e32 v131, 0xb964, v131
	v_pk_mul_f16 v160, v11, s17 op_sel_hi:[0,1]
	v_mul_f16_e32 v133, 0x39e9, v122
	v_pk_mul_f16 v161, v74, s16 op_sel_hi:[0,1]
	v_pk_add_f16 v10, v10, v34 neg_lo:[0,1] neg_hi:[0,1]
	v_pack_b32_f16 v11, v133, v161
	v_pack_b32_f16 v34, v131, v160
	s_mov_b32 s17, 0xb461bacd
	s_mov_b32 s18, 0x3bb2b836
	v_pk_add_f16 v11, v11, v34 neg_lo:[0,1] neg_hi:[0,1]
	v_pk_add_f16 v10, v10, v0 op_sel:[0,1] op_sel_hi:[1,0]
	v_mul_f16_e32 v134, 0xbb29, v134
	v_pk_mul_f16 v165, v29, s18 op_sel_hi:[0,1]
	v_mul_f16_e32 v135, 0x3722, v144
	v_pk_mul_f16 v166, v78, s17 op_sel_hi:[0,1]
	v_pk_add_f16 v10, v11, v10
	v_pack_b32_f16 v11, v135, v166
	v_pack_b32_f16 v29, v134, v165
	s_mov_b32 s18, 0x3b7639e9
	s_mov_b32 s19, 0x35c83964
	v_pk_add_f16 v11, v11, v29 neg_lo:[0,1] neg_hi:[0,1]
	v_mul_f16_e32 v137, 0xbbf7, v137
	v_pk_mul_f16 v167, v30, s19 op_sel_hi:[0,1]
	v_mul_f16_e32 v139, 0x2de8, v154
	v_pk_mul_f16 v168, v79, s18 op_sel_hi:[0,1]
	v_pk_add_f16 v10, v11, v10
	v_pack_b32_f16 v11, v139, v168
	v_pack_b32_f16 v29, v137, v167
	s_mov_b32 s19, 0x3722b8d2
	s_mov_b32 s20, 0xbb29ba62
	v_pk_add_f16 v11, v11, v29 neg_lo:[0,1] neg_hi:[0,1]
	v_mul_f16_e32 v142, 0xbbb2, v40
	v_pk_mul_f16 v170, v31, s20 op_sel_hi:[0,1]
	v_mul_f16_e32 v143, 0xb461, v159
	v_pk_mul_f16 v171, v80, s19 op_sel_hi:[0,1]
	v_pk_add_f16 v10, v11, v10
	v_pack_b32_f16 v11, v143, v171
	v_pack_b32_f16 v29, v142, v170
	s_mov_b32 s20, 0xbacd3722
	s_mov_b32 s21, 0xb8363b29
	v_add_f16_e32 v39, v39, v145
	v_pk_add_f16 v11, v11, v29 neg_lo:[0,1] neg_hi:[0,1]
	v_mul_f16_e32 v145, 0xba62, v37
	v_pk_mul_f16 v172, v32, s21 op_sel_hi:[0,1]
	v_mul_f16_e32 v147, 0xb8d2, v169
	v_pk_mul_f16 v173, v81, s20 op_sel_hi:[0,1]
	v_pk_add_f16 v10, v11, v10
	v_pack_b32_f16 v11, v147, v173
	v_pack_b32_f16 v29, v145, v172
	s_mov_b32 s21, 0xb8d2b461
	s_mov_b32 s22, 0x3a62bbb2
	v_pk_add_f16 v11, v11, v29 neg_lo:[0,1] neg_hi:[0,1]
	v_mul_f16_e32 v148, 0xb836, v38
	v_pk_mul_f16 v175, v33, s22 op_sel_hi:[0,1]
	v_mul_f16_e32 v149, 0xbacd, v178
	v_pk_mul_f16 v176, v84, s21 op_sel_hi:[0,1]
	v_pk_add_f16 v10, v11, v10
	v_pack_b32_f16 v11, v149, v176
	v_pack_b32_f16 v29, v148, v175
	v_pk_add_f16 v11, v11, v29 neg_lo:[0,1] neg_hi:[0,1]
	v_pk_add_f16 v10, v11, v10
	s_mov_b32 s22, 0x39e92de8
	s_mov_b32 s23, 0x39643bf7
	v_add_f16_e32 v184, v41, v43
	v_sub_f16_e32 v11, v2, v3
	v_mul_f16_e32 v151, 0xbbdd, v184
	v_mul_f16_e32 v152, 0xb1e1, v11
	v_pk_mul_f16 v179, v86, s22 op_sel_hi:[0,1]
	v_pk_mul_f16 v180, v183, s23 op_sel_hi:[0,1]
	v_pack_b32_f16 v29, v151, v179
	v_pack_b32_f16 v30, v152, v180
	v_mul_f16_e32 v164, 0x35c8, v11
	v_pk_add_f16 v29, v29, v30 neg_lo:[0,1] neg_hi:[0,1]
	v_fma_f16 v30, v184, s14, -v164
	v_add_f16_e32 v32, v30, v177
	v_mul_f16_e32 v177, 0xb836, v11
	v_fma_f16 v30, v184, s11, -v177
	v_add_f16_e32 v35, v30, v181
	v_mul_f16_e32 v181, 0x3964, v11
	v_fma_f16 v30, v184, s5, -v181
	v_add_f16_e32 v31, v30, v182
	v_mul_f16_e32 v182, 0xba62, v11
	v_fma_f16 v30, v184, s8, -v182
	v_add_f16_e32 v34, v30, v185
	v_mul_f16_e32 v185, 0x3b29, v11
	v_fma_f16 v30, v184, s9, -v185
	v_mul_f16_e32 v33, 0xbbb2, v11
	v_add_f16_e32 v37, v30, v188
	v_fma_f16 v30, v184, s10, v33
	v_pk_fma_f16 v38, v59, s15, v157 op_sel_hi:[0,1,1]
	v_add_f16_e32 v30, v30, v39
	v_pk_add_f16 v38, v38, v0 op_sel_hi:[1,0]
	v_pk_fma_f16 v39, v74, s16, v160 op_sel_hi:[0,1,1]
	v_pk_add_f16 v38, v39, v38
	v_pk_fma_f16 v39, v78, s17, v165 op_sel_hi:[0,1,1]
	v_pk_add_f16 v38, v39, v38
	v_pk_fma_f16 v39, v79, s18, v167 op_sel_hi:[0,1,1]
	v_pk_add_f16 v38, v39, v38
	v_pk_fma_f16 v39, v80, s19, v170 op_sel_hi:[0,1,1]
	v_pk_add_f16 v38, v39, v38
	v_pk_fma_f16 v39, v81, s20, v172 op_sel_hi:[0,1,1]
	v_pk_add_f16 v38, v39, v38
	v_pk_fma_f16 v39, v84, s21, v175 op_sel_hi:[0,1,1]
	v_mul_f16_e32 v11, 0x3bf7, v11
	v_pk_add_f16 v38, v39, v38
	v_pk_add_f16 v40, v29, v10
	v_pk_fma_f16 v10, v86, s22, v180 op_sel_hi:[0,1,1]
	v_fma_f16 v33, v184, s10, -v33
	v_pk_add_f16 v39, v10, v38
	v_fma_f16 v10, v184, s4, -v11
	v_mul_f16_e32 v183, 0xba62, v183
	v_add_f16_e32 v28, v28, v36
	v_add_f16_e32 v36, v33, v190
	v_fma_f16 v33, v184, s4, v11
	v_add_f16_e32 v38, v10, v192
	v_fma_f16 v10, v86, s10, -v186
	v_fma_f16 v11, v86, s8, v183
	v_add_f16_e32 v33, v33, v191
	v_add_f16_e32 v11, v11, v187
	;; [unrolled: 1-line block ×3, first 2 shown]
	v_mul_lo_u16_e32 v29, 17, v24
	s_barrier
	s_and_saveexec_b64 s[4:5], vcc
	s_cbranch_execz .LBB0_7
; %bb.6:
	v_mul_f16_e32 v186, 0x3b76, v59
	v_mul_f16_e32 v187, 0x39e9, v59
	;; [unrolled: 1-line block ×10, first 2 shown]
	v_sub_f16_e32 v59, v59, v90
	v_mul_f16_e32 v202, 0x3722, v78
	v_mul_f16_e32 v203, 0xb8d2, v78
	v_mul_f16_e32 v205, 0xbbdd, v78
	v_mul_f16_e32 v208, 0x39e9, v78
	v_mul_f16_e32 v78, 0x3b76, v78
	v_add_f16_e32 v59, v59, v0
	v_sub_f16_e32 v74, v74, v91
	v_mul_f16_e32 v210, 0x2de8, v79
	v_mul_f16_e32 v211, 0xbbdd, v79
	v_mul_f16_e32 v213, 0xb461, v79
	v_mul_f16_e32 v216, 0x3722, v79
	v_mul_f16_e32 v79, 0xbacd, v79
	v_add_f16_e32 v59, v74, v59
	;; [unrolled: 7-line block ×6, first 2 shown]
	v_sub_f16_e32 v74, v84, v97
	v_mul_f16_e32 v193, 0xb461, v125
	v_add_f16_e32 v59, v74, v59
	v_sub_f16_e32 v74, v86, v99
	v_mul_f16_e32 v201, 0xbacd, v122
	v_add_f16_e32 v59, v74, v59
	v_add_f16_e32 v74, v107, v193
	v_mul_f16_e32 v209, 0x39e9, v144
	v_add_f16_sdwa v74, v74, v0 dst_sel:DWORD dst_unused:UNUSED_PAD src0_sel:DWORD src1_sel:WORD_1
	v_add_f16_e32 v78, v108, v201
	v_mul_f16_e32 v217, 0x3722, v154
	v_add_f16_e32 v74, v78, v74
	v_add_f16_e32 v78, v119, v209
	v_mul_f16_e32 v225, 0xbbdd, v159
	v_add_f16_e32 v74, v78, v74
	;; [unrolled: 3-line block ×5, first 2 shown]
	v_add_f16_e32 v78, v162, v241
	v_add_f16_e32 v74, v78, v74
	;; [unrolled: 1-line block ×4, first 2 shown]
	v_sub_f16_e32 v78, v192, v104
	v_add_f16_e32 v78, v78, v0
	v_sub_f16_e32 v79, v200, v105
	v_add_f16_e32 v78, v79, v78
	;; [unrolled: 2-line block ×6, first 2 shown]
	v_sub_f16_e32 v79, v240, v156
	v_mul_f16_e32 v191, 0x2de8, v125
	v_add_f16_e32 v78, v79, v78
	v_sub_f16_e32 v79, v248, v183
	v_sub_f16_e32 v58, v187, v58
	v_mul_f16_e32 v199, 0xbbdd, v122
	v_add_f16_e32 v78, v79, v78
	v_add_f16_e32 v79, v100, v191
	;; [unrolled: 1-line block ×3, first 2 shown]
	v_sub_f16_e32 v60, v195, v60
	v_mul_f16_e32 v207, 0xb461, v144
	v_add_f16_sdwa v79, v79, v0 dst_sel:DWORD dst_unused:UNUSED_PAD src0_sel:DWORD src1_sel:WORD_1
	v_add_f16_e32 v80, v101, v199
	v_add_f16_e32 v58, v60, v58
	v_sub_f16_e32 v60, v203, v61
	v_mul_f16_e32 v215, 0x3b76, v154
	v_add_f16_e32 v79, v80, v79
	v_add_f16_e32 v80, v111, v207
	v_add_f16_e32 v58, v60, v58
	v_sub_f16_e32 v60, v211, v62
	v_mul_f16_e32 v223, 0x3722, v159
	v_add_f16_e32 v79, v80, v79
	;; [unrolled: 5-line block ×5, first 2 shown]
	v_add_f16_e32 v80, v150, v239
	v_add_f16_e32 v58, v60, v58
	v_sub_f16_e32 v60, v243, v71
	v_alignbit_b32 v250, v0, v0, 16
	v_add_f16_e32 v79, v80, v79
	v_add_f16_e32 v80, v181, v247
	v_sub_f16_sdwa v81, v158, v157 dst_sel:DWORD dst_unused:UNUSED_PAD src0_sel:WORD_1 src1_sel:WORD_1
	v_sub_f16_e32 v63, v189, v63
	v_add_f16_e32 v58, v60, v58
	v_add_f16_e32 v60, v129, v130
	;; [unrolled: 1-line block ×3, first 2 shown]
	v_sub_f16_sdwa v80, v161, v160 dst_sel:DWORD dst_unused:UNUSED_PAD src0_sel:WORD_1 src1_sel:WORD_1
	v_add_f16_sdwa v81, v81, v250 dst_sel:DWORD dst_unused:UNUSED_PAD src0_sel:DWORD src1_sel:WORD_1
	v_add_f16_e32 v63, v63, v0
	v_sub_f16_e32 v64, v197, v64
	v_add_f16_sdwa v60, v60, v0 dst_sel:DWORD dst_unused:UNUSED_PAD src0_sel:DWORD src1_sel:WORD_1
	v_add_f16_e32 v61, v131, v133
	v_add_f16_e32 v80, v80, v81
	v_sub_f16_sdwa v81, v166, v165 dst_sel:DWORD dst_unused:UNUSED_PAD src0_sel:WORD_1 src1_sel:WORD_1
	v_add_f16_e32 v63, v64, v63
	v_sub_f16_e32 v64, v205, v66
	v_add_f16_e32 v60, v61, v60
	v_add_f16_e32 v61, v134, v135
	v_add_f16_e32 v80, v81, v80
	v_sub_f16_sdwa v81, v168, v167 dst_sel:DWORD dst_unused:UNUSED_PAD src0_sel:WORD_1 src1_sel:WORD_1
	v_add_f16_e32 v63, v64, v63
	v_sub_f16_e32 v64, v213, v68
	v_add_f16_e32 v60, v61, v60
	;; [unrolled: 6-line block ×5, first 2 shown]
	v_add_f16_e32 v61, v148, v149
	v_mul_f16_e32 v188, 0x39e9, v125
	v_mul_f16_e32 v190, 0x3722, v125
	;; [unrolled: 1-line block ×3, first 2 shown]
	v_add_f16_e32 v80, v81, v80
	v_sub_f16_sdwa v81, v179, v180 dst_sel:DWORD dst_unused:UNUSED_PAD src0_sel:WORD_1 src1_sel:WORD_1
	v_add_f16_e32 v63, v64, v63
	v_sub_f16_e32 v64, v245, v75
	v_add_f16_e32 v60, v61, v60
	v_add_f16_e32 v61, v152, v151
	;; [unrolled: 1-line block ×8, first 2 shown]
	v_sub_f16_e32 v61, v186, v76
	v_add_f16_sdwa v114, v114, v0 dst_sel:DWORD dst_unused:UNUSED_PAD src0_sel:DWORD src1_sel:WORD_1
	v_add_f16_sdwa v81, v81, v0 dst_sel:DWORD dst_unused:UNUSED_PAD src0_sel:DWORD src1_sel:WORD_1
	;; [unrolled: 1-line block ×3, first 2 shown]
	v_add_f16_e32 v61, v61, v0
	v_add_f16_sdwa v49, v49, v0 dst_sel:DWORD dst_unused:UNUSED_PAD src0_sel:DWORD src1_sel:WORD_1
	v_add_f16_e32 v0, v1, v0
	v_add_f16_e32 v47, v47, v49
	;; [unrolled: 1-line block ×15, first 2 shown]
	v_mul_f16_e32 v196, 0x2de8, v122
	v_add_f16_e32 v41, v41, v43
	v_add_f16_e32 v0, v3, v0
	v_mul_f16_e32 v198, 0xb8d2, v122
	v_mul_f16_e32 v204, 0xb8d2, v144
	v_add_f16_e32 v66, v83, v196
	v_sub_f16_e32 v62, v194, v77
	v_add_f16_e32 v41, v53, v41
	v_add_f16_e32 v0, v12, v0
	v_mul_f16_e32 v122, 0xb461, v122
	v_mul_f16_e32 v206, 0xbbdd, v144
	;; [unrolled: 1-line block ×3, first 2 shown]
	v_add_f16_e32 v84, v88, v198
	v_add_f16_e32 v64, v66, v64
	;; [unrolled: 1-line block ×4, first 2 shown]
	v_sub_f16_e32 v62, v202, v85
	v_add_f16_e32 v41, v52, v41
	v_add_f16_e32 v0, v13, v0
	v_mul_f16_e32 v144, 0x3b76, v144
	v_mul_f16_e32 v214, 0xb461, v154
	;; [unrolled: 1-line block ×3, first 2 shown]
	v_add_f16_e32 v115, v115, v122
	v_add_f16_e32 v81, v84, v81
	v_add_f16_e32 v84, v103, v206
	v_add_f16_e32 v64, v66, v64
	v_add_f16_e32 v66, v102, v212
	v_add_f16_e32 v61, v62, v61
	v_sub_f16_e32 v62, v210, v89
	v_add_f16_e32 v41, v51, v41
	v_add_f16_e32 v0, v16, v0
	v_mul_f16_e32 v154, 0xbacd, v154
	v_mul_f16_e32 v222, 0x39e9, v159
	v_mul_f16_e32 v228, 0xb461, v169
	v_add_f16_e32 v114, v115, v114
	v_add_f16_e32 v115, v128, v144
	v_add_f16_e32 v81, v84, v81
	v_add_f16_e32 v84, v110, v214
	v_add_f16_e32 v64, v66, v64
	v_add_f16_e32 v66, v109, v220
	v_add_f16_e32 v61, v62, v61
	v_sub_f16_e32 v62, v218, v98
	v_add_f16_e32 v41, v54, v41
	v_add_f16_e32 v0, v17, v0
	v_mul_f16_e32 v159, 0x2de8, v159
	v_mul_f16_e32 v230, 0x3b76, v169
	v_mul_f16_e32 v236, 0x3722, v178
	v_add_f16_e32 v114, v115, v114
	;; [unrolled: 13-line block ×3, first 2 shown]
	v_add_f16_e32 v115, v155, v159
	v_add_f16_e32 v81, v84, v81
	;; [unrolled: 1-line block ×6, first 2 shown]
	v_sub_f16_e32 v62, v234, v112
	v_add_f16_e32 v41, v56, v41
	v_add_f16_e32 v0, v23, v0
	v_mul_f16_e32 v178, 0xbbdd, v178
	v_mul_f16_e32 v246, 0xbacd, v184
	v_add_f16_e32 v114, v115, v114
	v_add_f16_e32 v115, v163, v169
	;; [unrolled: 1-line block ×7, first 2 shown]
	v_sub_f16_e32 v62, v242, v120
	v_add_f16_sdwa v41, v57, v41 dst_sel:WORD_1 dst_unused:UNUSED_PAD src0_sel:DWORD src1_sel:DWORD
	v_add_f16_e32 v0, v42, v0
	v_mul_f16_e32 v184, 0x3722, v184
	v_add_f16_e32 v114, v115, v114
	v_add_f16_e32 v115, v174, v178
	;; [unrolled: 1-line block ×6, first 2 shown]
	v_or_b32_e32 v0, v41, v0
	v_add_lshl_u32 v1, v9, v29, 2
	v_add_f16_e32 v114, v115, v114
	v_add_f16_e32 v115, v185, v184
	;; [unrolled: 1-line block ×3, first 2 shown]
	ds_write_b32 v1, v0
	v_pack_b32_f16 v0, v58, v64
	v_pack_b32_f16 v2, v61, v60
	v_add_f16_e32 v114, v115, v114
	ds_write2_b32 v1, v2, v0 offset0:1 offset1:2
	v_pack_b32_f16 v0, v63, v81
	v_pack_b32_f16 v2, v80, v79
	ds_write2_b32 v1, v0, v2 offset0:3 offset1:4
	v_pack_b32_f16 v0, v59, v114
	v_pack_b32_f16 v2, v78, v74
	s_mov_b32 s8, 0x5040100
	ds_write2_b32 v1, v2, v0 offset0:5 offset1:6
	v_perm_b32 v0, v30, v10, s8
	v_alignbit_b32 v2, v33, v40, 16
	ds_write2_b32 v1, v0, v2 offset0:7 offset1:8
	v_perm_b32 v0, v36, v7, s8
	v_perm_b32 v2, v38, v39, s8
	ds_write2_b32 v1, v2, v0 offset0:9 offset1:10
	v_perm_b32 v0, v34, v11, s8
	v_perm_b32 v2, v37, v8, s8
	ds_write2_b32 v1, v2, v0 offset0:11 offset1:12
	v_perm_b32 v0, v35, v5, s8
	v_alignbit_b32 v2, v31, v39, 16
	ds_write2_b32 v1, v2, v0 offset0:13 offset1:14
	v_perm_b32 v0, v32, v6, s8
	v_perm_b32 v2, v40, v28, s8
	ds_write2_b32 v1, v0, v2 offset0:15 offset1:16
.LBB0_7:
	s_or_b64 exec, exec, s[4:5]
	v_mul_u32_u24_e32 v0, 6, v24
	v_lshlrev_b32_e32 v12, 2, v0
	s_load_dwordx4 s[8:11], s[2:3], 0x0
	s_waitcnt lgkmcnt(0)
	s_barrier
	global_load_dwordx4 v[0:3], v12, s[0:1]
	global_load_dwordx2 v[13:14], v12, s[0:1] offset:16
	v_add_lshl_u32 v22, v9, v24, 2
	ds_read2_b32 v[15:16], v22 offset1:17
	ds_read2_b32 v[17:18], v22 offset0:34 offset1:51
	ds_read2_b32 v[19:20], v22 offset0:68 offset1:85
	ds_read_b32 v9, v22 offset:408
	s_movk_i32 s0, 0x2b26
	s_mov_b32 s2, 0xbcab
	s_waitcnt lgkmcnt(3)
	v_lshrrev_b32_e32 v12, 16, v16
	s_waitcnt lgkmcnt(2)
	v_lshrrev_b32_e32 v21, 16, v17
	v_lshrrev_b32_e32 v23, 16, v18
	s_waitcnt lgkmcnt(1)
	v_lshrrev_b32_e32 v41, 16, v19
	v_lshrrev_b32_e32 v42, 16, v20
	s_waitcnt lgkmcnt(0)
	v_lshrrev_b32_e32 v43, 16, v9
	s_movk_i32 s1, 0x3b00
	s_waitcnt vmcnt(1)
	v_mul_f16_sdwa v44, v12, v0 dst_sel:DWORD dst_unused:UNUSED_PAD src0_sel:DWORD src1_sel:WORD_1
	v_mul_f16_sdwa v45, v16, v0 dst_sel:DWORD dst_unused:UNUSED_PAD src0_sel:DWORD src1_sel:WORD_1
	;; [unrolled: 1-line block ×8, first 2 shown]
	s_waitcnt vmcnt(0)
	v_mul_f16_sdwa v52, v42, v13 dst_sel:DWORD dst_unused:UNUSED_PAD src0_sel:DWORD src1_sel:WORD_1
	v_mul_f16_sdwa v53, v20, v13 dst_sel:DWORD dst_unused:UNUSED_PAD src0_sel:DWORD src1_sel:WORD_1
	;; [unrolled: 1-line block ×4, first 2 shown]
	v_fma_f16 v16, v16, v0, -v44
	v_fma_f16 v12, v12, v0, v45
	v_fma_f16 v17, v17, v1, -v46
	v_fma_f16 v21, v21, v1, v47
	;; [unrolled: 2-line block ×6, first 2 shown]
	v_add_f16_e32 v44, v16, v9
	v_add_f16_e32 v45, v12, v43
	v_sub_f16_e32 v9, v16, v9
	v_sub_f16_e32 v12, v12, v43
	v_add_f16_e32 v16, v17, v20
	v_add_f16_e32 v43, v21, v42
	v_sub_f16_e32 v17, v17, v20
	v_sub_f16_e32 v20, v21, v42
	;; [unrolled: 4-line block ×4, first 2 shown]
	v_sub_f16_e32 v44, v44, v21
	v_sub_f16_e32 v45, v45, v42
	v_sub_f16_e32 v16, v21, v16
	v_sub_f16_e32 v43, v42, v43
	v_add_f16_e32 v21, v21, v23
	v_add_f16_e32 v23, v42, v41
	v_mul_f16_e32 v41, 0x3a52, v44
	v_mul_f16_e32 v42, 0x3a52, v45
	;; [unrolled: 1-line block ×4, first 2 shown]
	v_fma_f16 v16, v16, s0, v41
	v_fma_f16 v43, v43, s0, v42
	s_movk_i32 s0, 0x39e0
	v_add_f16_e32 v48, v18, v17
	v_add_f16_e32 v49, v19, v20
	v_sub_f16_e32 v50, v18, v17
	v_sub_f16_e32 v51, v19, v20
	v_fma_f16 v44, v46, s0, -v44
	v_fma_f16 v45, v47, s0, -v45
	s_mov_b32 s0, 0xb9e0
	v_sub_f16_e32 v18, v9, v18
	v_sub_f16_e32 v19, v12, v19
	;; [unrolled: 1-line block ×4, first 2 shown]
	v_add_f16_e32 v9, v48, v9
	v_add_f16_e32 v12, v49, v12
	v_mul_f16_e32 v48, 0xb846, v50
	v_mul_f16_e32 v49, 0xb846, v51
	v_fma_f16 v41, v46, s0, -v41
	v_fma_f16 v42, v47, s0, -v42
	s_movk_i32 s0, 0x3574
	v_mul_f16_e32 v50, 0x3b00, v17
	v_mul_f16_e32 v51, 0x3b00, v20
	v_add_f16_e32 v52, v21, v15
	v_add_f16_sdwa v53, v23, v15 dst_sel:DWORD dst_unused:UNUSED_PAD src0_sel:DWORD src1_sel:WORD_1
	v_fma_f16 v46, v18, s0, v48
	v_fma_f16 v47, v19, s0, v49
	s_mov_b32 s0, 0xb574
	v_fma_f16 v21, v21, s2, v52
	v_fma_f16 v23, v23, s2, v53
	v_fma_f16 v18, v18, s0, -v50
	v_fma_f16 v19, v19, s0, -v51
	s_movk_i32 s0, 0x370e
	v_fma_f16 v17, v17, s1, -v48
	v_fma_f16 v20, v20, s1, -v49
	v_add_f16_e32 v48, v16, v21
	v_add_f16_e32 v49, v43, v23
	v_fma_f16 v46, v9, s0, v46
	v_fma_f16 v47, v12, s0, v47
	v_lshlrev_b32_e32 v15, 16, v53
	v_add_f16_e32 v43, v44, v21
	v_add_f16_e32 v44, v45, v23
	;; [unrolled: 1-line block ×4, first 2 shown]
	v_fma_f16 v50, v9, s0, v17
	v_fma_f16 v20, v12, s0, v20
	;; [unrolled: 1-line block ×4, first 2 shown]
	v_add_f16_e32 v16, v47, v48
	v_sub_f16_e32 v23, v49, v46
	v_or_b32_e32 v15, v15, v52
	v_add_f16_e32 v17, v12, v21
	v_sub_f16_e32 v41, v45, v9
	v_sub_f16_e32 v18, v43, v20
	v_add_f16_e32 v42, v50, v44
	v_add_f16_e32 v19, v20, v43
	v_sub_f16_e32 v20, v21, v12
	v_lshl_add_u32 v21, v24, 2, v27
	v_pack_b32_f16 v12, v16, v23
	v_sub_f16_e32 v43, v44, v50
	v_add_f16_e32 v44, v9, v45
	v_add_f16_e32 v45, v46, v49
	ds_write2_b32 v21, v15, v12 offset1:17
	v_pack_b32_f16 v12, v17, v41
	v_pack_b32_f16 v46, v18, v42
	v_sub_f16_e32 v9, v48, v47
	ds_write2_b32 v21, v12, v46 offset0:34 offset1:51
	v_pack_b32_f16 v12, v19, v43
	v_pack_b32_f16 v46, v20, v44
	ds_write2_b32 v21, v12, v46 offset0:68 offset1:85
	v_pack_b32_f16 v12, v9, v45
	ds_write_b32 v21, v12 offset:408
	s_waitcnt lgkmcnt(0)
	s_barrier
	s_and_saveexec_b64 s[0:1], vcc
	s_cbranch_execz .LBB0_9
; %bb.8:
	global_load_dword v12, v25, s[6:7] offset:476
	s_add_u32 s2, s6, 0x1dc
	s_addc_u32 s3, s7, 0
	global_load_dword v58, v25, s[2:3] offset:28
	global_load_dword v59, v25, s[2:3] offset:56
	;; [unrolled: 1-line block ×10, first 2 shown]
	ds_read2_b32 v[46:47], v21 offset1:7
	ds_read2_b32 v[48:49], v21 offset0:14 offset1:21
	ds_read2_b32 v[50:51], v21 offset0:28 offset1:35
	ds_read2_b32 v[52:53], v21 offset0:42 offset1:49
	global_load_dword v68, v25, s[2:3] offset:308
	ds_read2_b32 v[54:55], v21 offset0:56 offset1:63
	ds_read2_b32 v[56:57], v21 offset0:70 offset1:77
	global_load_dword v69, v25, s[2:3] offset:336
	global_load_dword v70, v25, s[2:3] offset:364
	;; [unrolled: 1-line block ×5, first 2 shown]
	s_waitcnt lgkmcnt(5)
	v_lshrrev_b32_e32 v74, 16, v46
	v_lshrrev_b32_e32 v75, 16, v47
	s_waitcnt lgkmcnt(4)
	v_lshrrev_b32_e32 v76, 16, v48
	v_lshrrev_b32_e32 v77, 16, v49
	;; [unrolled: 3-line block ×5, first 2 shown]
	s_waitcnt vmcnt(13)
	v_mul_f16_sdwa v86, v77, v60 dst_sel:DWORD dst_unused:UNUSED_PAD src0_sel:DWORD src1_sel:WORD_1
	v_mul_f16_sdwa v87, v49, v60 dst_sel:DWORD dst_unused:UNUSED_PAD src0_sel:DWORD src1_sel:WORD_1
	s_waitcnt vmcnt(12)
	v_mul_f16_sdwa v88, v78, v61 dst_sel:DWORD dst_unused:UNUSED_PAD src0_sel:DWORD src1_sel:WORD_1
	v_mul_f16_sdwa v89, v50, v61 dst_sel:DWORD dst_unused:UNUSED_PAD src0_sel:DWORD src1_sel:WORD_1
	;; [unrolled: 1-line block ×4, first 2 shown]
	v_fma_f16 v46, v46, v12, -v84
	v_fma_f16 v12, v74, v12, v85
	v_pack_b32_f16 v12, v46, v12
	v_mul_f16_sdwa v46, v75, v58 dst_sel:DWORD dst_unused:UNUSED_PAD src0_sel:DWORD src1_sel:WORD_1
	v_mul_f16_sdwa v74, v47, v58 dst_sel:DWORD dst_unused:UNUSED_PAD src0_sel:DWORD src1_sel:WORD_1
	;; [unrolled: 1-line block ×4, first 2 shown]
	s_waitcnt vmcnt(11)
	v_mul_f16_sdwa v90, v79, v62 dst_sel:DWORD dst_unused:UNUSED_PAD src0_sel:DWORD src1_sel:WORD_1
	v_mul_f16_sdwa v91, v51, v62 dst_sel:DWORD dst_unused:UNUSED_PAD src0_sel:DWORD src1_sel:WORD_1
	s_waitcnt vmcnt(10)
	v_mul_f16_sdwa v92, v80, v63 dst_sel:DWORD dst_unused:UNUSED_PAD src0_sel:DWORD src1_sel:WORD_1
	v_mul_f16_sdwa v93, v52, v63 dst_sel:DWORD dst_unused:UNUSED_PAD src0_sel:DWORD src1_sel:WORD_1
	;; [unrolled: 3-line block ×3, first 2 shown]
	v_fma_f16 v46, v47, v58, -v46
	v_fma_f16 v47, v75, v58, v74
	v_fma_f16 v48, v48, v59, -v84
	v_fma_f16 v58, v76, v59, v85
	;; [unrolled: 2-line block ×7, first 2 shown]
	v_pack_b32_f16 v46, v46, v47
	s_waitcnt vmcnt(8)
	v_mul_f16_sdwa v96, v82, v65 dst_sel:DWORD dst_unused:UNUSED_PAD src0_sel:DWORD src1_sel:WORD_1
	v_mul_f16_sdwa v97, v54, v65 dst_sel:DWORD dst_unused:UNUSED_PAD src0_sel:DWORD src1_sel:WORD_1
	s_waitcnt vmcnt(7)
	v_mul_f16_sdwa v98, v83, v66 dst_sel:DWORD dst_unused:UNUSED_PAD src0_sel:DWORD src1_sel:WORD_1
	v_pack_b32_f16 v47, v48, v58
	v_pack_b32_f16 v48, v49, v59
	;; [unrolled: 1-line block ×6, first 2 shown]
	ds_write2_b32 v21, v12, v46 offset1:7
	ds_write2_b32 v21, v47, v48 offset0:14 offset1:21
	ds_write2_b32 v21, v49, v50 offset0:28 offset1:35
	;; [unrolled: 1-line block ×3, first 2 shown]
	v_mul_f16_sdwa v12, v55, v66 dst_sel:DWORD dst_unused:UNUSED_PAD src0_sel:DWORD src1_sel:WORD_1
	v_fma_f16 v54, v54, v65, -v96
	v_fma_f16 v64, v82, v65, v97
	v_fma_f16 v65, v55, v66, -v98
	v_fma_f16 v12, v83, v66, v12
	v_pack_b32_f16 v53, v54, v64
	v_pack_b32_f16 v12, v65, v12
	ds_write2_b32 v21, v53, v12 offset0:56 offset1:63
	s_waitcnt lgkmcnt(5)
	v_lshrrev_b32_e32 v12, 16, v56
	s_waitcnt vmcnt(6)
	v_mul_f16_sdwa v46, v12, v67 dst_sel:DWORD dst_unused:UNUSED_PAD src0_sel:DWORD src1_sel:WORD_1
	v_mul_f16_sdwa v47, v56, v67 dst_sel:DWORD dst_unused:UNUSED_PAD src0_sel:DWORD src1_sel:WORD_1
	v_fma_f16 v46, v56, v67, -v46
	v_fma_f16 v12, v12, v67, v47
	v_lshrrev_b32_e32 v48, 16, v57
	v_pack_b32_f16 v12, v46, v12
	s_waitcnt vmcnt(5)
	v_mul_f16_sdwa v46, v48, v68 dst_sel:DWORD dst_unused:UNUSED_PAD src0_sel:DWORD src1_sel:WORD_1
	v_fma_f16 v49, v57, v68, -v46
	ds_read2_b32 v[46:47], v21 offset0:84 offset1:91
	v_mul_f16_sdwa v50, v57, v68 dst_sel:DWORD dst_unused:UNUSED_PAD src0_sel:DWORD src1_sel:WORD_1
	v_fma_f16 v48, v48, v68, v50
	v_pack_b32_f16 v48, v49, v48
	ds_write2_b32 v21, v12, v48 offset0:70 offset1:77
	s_waitcnt lgkmcnt(1)
	v_lshrrev_b32_e32 v12, 16, v46
	s_waitcnt vmcnt(4)
	v_mul_f16_sdwa v48, v12, v69 dst_sel:DWORD dst_unused:UNUSED_PAD src0_sel:DWORD src1_sel:WORD_1
	v_fma_f16 v48, v46, v69, -v48
	v_mul_f16_sdwa v46, v46, v69 dst_sel:DWORD dst_unused:UNUSED_PAD src0_sel:DWORD src1_sel:WORD_1
	v_fma_f16 v12, v12, v69, v46
	v_lshrrev_b32_e32 v46, 16, v47
	v_pack_b32_f16 v12, v48, v12
	s_waitcnt vmcnt(3)
	v_mul_f16_sdwa v48, v46, v70 dst_sel:DWORD dst_unused:UNUSED_PAD src0_sel:DWORD src1_sel:WORD_1
	v_fma_f16 v50, v47, v70, -v48
	ds_read2_b32 v[48:49], v21 offset0:98 offset1:105
	v_mul_f16_sdwa v47, v47, v70 dst_sel:DWORD dst_unused:UNUSED_PAD src0_sel:DWORD src1_sel:WORD_1
	v_fma_f16 v46, v46, v70, v47
	v_pack_b32_f16 v46, v50, v46
	ds_write2_b32 v21, v12, v46 offset0:84 offset1:91
	s_waitcnt lgkmcnt(1)
	v_lshrrev_b32_e32 v12, 16, v48
	s_waitcnt vmcnt(2)
	v_mul_f16_sdwa v46, v12, v71 dst_sel:DWORD dst_unused:UNUSED_PAD src0_sel:DWORD src1_sel:WORD_1
	v_mul_f16_sdwa v47, v48, v71 dst_sel:DWORD dst_unused:UNUSED_PAD src0_sel:DWORD src1_sel:WORD_1
	v_fma_f16 v46, v48, v71, -v46
	v_fma_f16 v12, v12, v71, v47
	v_pack_b32_f16 v12, v46, v12
	v_lshrrev_b32_e32 v46, 16, v49
	ds_read_b32 v48, v21 offset:448
	s_waitcnt vmcnt(1)
	v_mul_f16_sdwa v47, v46, v72 dst_sel:DWORD dst_unused:UNUSED_PAD src0_sel:DWORD src1_sel:WORD_1
	v_fma_f16 v47, v49, v72, -v47
	v_mul_f16_sdwa v49, v49, v72 dst_sel:DWORD dst_unused:UNUSED_PAD src0_sel:DWORD src1_sel:WORD_1
	v_fma_f16 v46, v46, v72, v49
	v_pack_b32_f16 v46, v47, v46
	ds_write2_b32 v21, v12, v46 offset0:98 offset1:105
	s_waitcnt lgkmcnt(1)
	v_lshrrev_b32_e32 v12, 16, v48
	s_waitcnt vmcnt(0)
	v_mul_f16_sdwa v46, v12, v73 dst_sel:DWORD dst_unused:UNUSED_PAD src0_sel:DWORD src1_sel:WORD_1
	v_mul_f16_sdwa v47, v48, v73 dst_sel:DWORD dst_unused:UNUSED_PAD src0_sel:DWORD src1_sel:WORD_1
	v_fma_f16 v46, v48, v73, -v46
	v_fma_f16 v12, v12, v73, v47
	v_pack_b32_f16 v12, v46, v12
	ds_write_b32 v21, v12 offset:448
.LBB0_9:
	s_or_b64 exec, exec, s[0:1]
	s_waitcnt lgkmcnt(0)
	s_barrier
	s_and_saveexec_b64 s[0:1], vcc
	s_cbranch_execz .LBB0_11
; %bb.10:
	ds_read2_b32 v[15:16], v21 offset1:7
	ds_read2_b32 v[17:18], v21 offset0:14 offset1:21
	ds_read2_b32 v[19:20], v21 offset0:28 offset1:35
	;; [unrolled: 1-line block ×7, first 2 shown]
	ds_read_b32 v28, v21 offset:448
	s_mov_b32 s2, 0x5040100
	s_waitcnt lgkmcnt(8)
	v_lshrrev_b32_e32 v23, 16, v16
	s_waitcnt lgkmcnt(7)
	v_lshrrev_b32_e32 v41, 16, v17
	v_lshrrev_b32_e32 v42, 16, v18
	s_waitcnt lgkmcnt(6)
	v_lshrrev_b32_e32 v43, 16, v19
	;; [unrolled: 3-line block ×7, first 2 shown]
	v_lshrrev_b32_e32 v32, 16, v6
	v_perm_b32 v39, v12, v47, s2
	s_waitcnt lgkmcnt(0)
	v_alignbit_b32 v40, v46, v28, 16
.LBB0_11:
	s_or_b64 exec, exec, s[0:1]
	s_barrier
	s_and_saveexec_b64 s[0:1], vcc
	s_cbranch_execz .LBB0_13
; %bb.12:
	v_add_f16_e32 v68, v40, v23
	v_mul_f16_e32 v69, 0xbbdd, v68
	v_sub_f16_e32 v46, v16, v28
	s_movk_i32 s25, 0x31e1
	v_add_f16_e32 v70, v32, v41
	v_fma_f16 v12, v46, s25, v69
	v_mul_f16_e32 v71, 0x3b76, v70
	v_sub_f16_e32 v47, v17, v6
	s_mov_b32 s15, 0xb5c8
	v_add_f16_sdwa v12, v12, v15 dst_sel:DWORD dst_unused:UNUSED_PAD src0_sel:DWORD src1_sel:WORD_1
	v_fma_f16 v48, v47, s15, v71
	v_add_f16_e32 v72, v35, v42
	v_add_f16_e32 v12, v48, v12
	v_mul_f16_e32 v73, 0xbacd, v72
	v_sub_f16_e32 v48, v18, v5
	s_movk_i32 s21, 0x3836
	v_fma_f16 v49, v48, s21, v73
	v_add_f16_e32 v74, v31, v43
	v_add_f16_e32 v12, v49, v12
	v_mul_f16_e32 v75, 0x39e9, v74
	v_sub_f16_sdwa v49, v19, v39 dst_sel:DWORD dst_unused:UNUSED_PAD src0_sel:DWORD src1_sel:WORD_1
	s_mov_b32 s18, 0xb964
	v_fma_f16 v50, v49, s18, v75
	v_add_f16_e32 v76, v34, v44
	v_add_f16_e32 v12, v50, v12
	v_mul_f16_e32 v77, 0xb8d2, v76
	v_sub_f16_e32 v50, v20, v11
	s_movk_i32 s31, 0x3a62
	v_add_f16_e32 v78, v37, v45
	v_fma_f16 v51, v50, s31, v77
	v_mul_f16_e32 v79, 0x3722, v78
	v_sub_f16_e32 v52, v9, v8
	s_mov_b32 s20, 0xbb29
	v_add_f16_e32 v80, v36, v30
	v_add_f16_e32 v12, v51, v12
	v_fma_f16 v51, v52, s20, v79
	v_mul_f16_e32 v81, 0xb461, v80
	v_sub_f16_e32 v53, v10, v7
	s_movk_i32 s26, 0x3bb2
	v_add_f16_e32 v82, v38, v33
	v_add_f16_e32 v12, v51, v12
	v_fma_f16 v51, v53, s26, v81
	v_mul_f16_e32 v83, 0x2de8, v82
	v_sub_f16_sdwa v54, v40, v39 dst_sel:DWORD dst_unused:UNUSED_PAD src0_sel:WORD_1 src1_sel:DWORD
	s_mov_b32 s23, 0xbbf7
	v_sub_f16_e32 v84, v23, v40
	s_mov_b32 s2, 0xbbdd
	v_add_f16_e32 v12, v51, v12
	v_fma_f16 v51, v54, s23, v83
	v_add_f16_e32 v55, v28, v16
	v_mul_f16_e32 v85, 0xb1e1, v84
	v_sub_f16_e32 v86, v41, v32
	s_movk_i32 s4, 0x3b76
	v_add_f16_e32 v12, v51, v12
	v_fma_f16 v51, v55, s2, v85
	v_add_f16_e32 v56, v6, v17
	v_mul_f16_e32 v87, 0x35c8, v86
	v_add_f16_e32 v51, v51, v15
	v_fma_f16 v57, v56, s4, v87
	v_sub_f16_e32 v88, v42, v35
	s_mov_b32 s3, 0xbacd
	v_add_f16_e32 v51, v57, v51
	v_add_f16_e32 v57, v5, v18
	v_mul_f16_e32 v89, 0xb836, v88
	v_sub_f16_e32 v90, v43, v31
	s_movk_i32 s14, 0x39e9
	v_fma_f16 v58, v57, s3, v89
	v_add_f16_sdwa v59, v39, v19 dst_sel:DWORD dst_unused:UNUSED_PAD src0_sel:WORD_1 src1_sel:DWORD
	v_mul_f16_e32 v91, 0x3964, v90
	v_sub_f16_e32 v92, v44, v34
	s_mov_b32 s5, 0xb8d2
	v_add_f16_e32 v51, v58, v51
	v_fma_f16 v58, v59, s14, v91
	v_add_f16_e32 v60, v11, v20
	v_mul_f16_e32 v93, 0xba62, v92
	v_sub_f16_e32 v94, v45, v37
	s_movk_i32 s16, 0x3722
	v_add_f16_e32 v51, v58, v51
	v_fma_f16 v58, v60, s5, v93
	v_add_f16_e32 v61, v8, v9
	v_mul_f16_e32 v95, 0x3b29, v94
	v_sub_f16_e32 v96, v30, v36
	s_mov_b32 s17, 0xb461
	v_add_f16_e32 v51, v58, v51
	v_fma_f16 v58, v61, s16, v95
	v_add_f16_e32 v62, v7, v10
	v_mul_f16_e32 v97, 0xbbb2, v96
	v_sub_f16_e32 v98, v33, v38
	s_movk_i32 s19, 0x2de8
	v_add_f16_e32 v51, v58, v51
	v_fma_f16 v58, v62, s17, v97
	v_add_f16_sdwa v63, v39, v40 dst_sel:DWORD dst_unused:UNUSED_PAD src0_sel:DWORD src1_sel:WORD_1
	v_mul_f16_e32 v99, 0x3bf7, v98
	v_add_f16_e32 v51, v58, v51
	v_fma_f16 v58, v63, s19, v99
	v_mul_f16_e32 v100, 0xbacd, v68
	v_add_f16_e32 v51, v58, v51
	v_fma_f16 v58, v46, s21, v100
	v_mul_f16_e32 v101, 0x3722, v70
	s_movk_i32 s34, 0x3bf7
	v_add_f16_sdwa v58, v58, v15 dst_sel:DWORD dst_unused:UNUSED_PAD src0_sel:DWORD src1_sel:WORD_1
	v_fma_f16 v64, v47, s20, v101
	v_mul_f16_e32 v102, 0x2de8, v72
	s_mov_b32 s27, 0xba62
	v_add_f16_e32 v58, v64, v58
	v_fma_f16 v64, v48, s34, v102
	v_mul_f16_e32 v103, 0xb8d2, v74
	s_movk_i32 s28, 0x35c8
	v_add_f16_e32 v58, v64, v58
	v_fma_f16 v64, v49, s27, v103
	v_mul_f16_e32 v104, 0x3b76, v76
	v_add_f16_e32 v58, v64, v58
	v_fma_f16 v64, v50, s28, v104
	v_mul_f16_e32 v105, 0xbbdd, v78
	;; [unrolled: 3-line block ×13, first 2 shown]
	s_mov_b32 s29, 0xbbb2
	v_add_f16_e32 v64, v65, v64
	v_fma_f16 v65, v46, s31, v116
	v_mul_f16_e32 v117, 0xb461, v70
	v_add_f16_sdwa v65, v65, v15 dst_sel:DWORD dst_unused:UNUSED_PAD src0_sel:DWORD src1_sel:WORD_1
	v_fma_f16 v66, v47, s29, v117
	v_mul_f16_e32 v118, 0x3b76, v72
	v_add_f16_e32 v65, v66, v65
	v_fma_f16 v66, v48, s28, v118
	v_mul_f16_e32 v119, 0xbacd, v74
	v_add_f16_e32 v65, v66, v65
	v_fma_f16 v66, v49, s21, v119
	v_mul_f16_e32 v120, 0x2de8, v76
	s_movk_i32 s33, 0x3964
	v_add_f16_e32 v65, v66, v65
	v_fma_f16 v66, v50, s23, v120
	v_mul_f16_e32 v121, 0x39e9, v78
	v_add_f16_e32 v65, v66, v65
	v_fma_f16 v66, v52, s33, v121
	v_mul_f16_e32 v122, 0xbbdd, v80
	;; [unrolled: 3-line block ×12, first 2 shown]
	s_mov_b32 s24, 0xb836
	v_add_f16_e32 v66, v67, v66
	v_fma_f16 v67, v46, s26, v132
	v_mul_f16_e32 v133, 0xbacd, v70
	v_add_f16_sdwa v67, v67, v15 dst_sel:DWORD dst_unused:UNUSED_PAD src0_sel:DWORD src1_sel:WORD_1
	v_fma_f16 v134, v47, s24, v133
	v_add_f16_e32 v67, v134, v67
	v_mul_f16_e32 v134, 0x39e9, v72
	v_fma_f16 v135, v48, s18, v134
	s_movk_i32 s30, 0x3b29
	v_add_f16_e32 v67, v135, v67
	v_mul_f16_e32 v135, 0x3722, v74
	v_fma_f16 v136, v49, s30, v135
	v_add_f16_e32 v67, v136, v67
	v_mul_f16_e32 v136, 0xbbdd, v76
	v_fma_f16 v137, v50, s25, v136
	;; [unrolled: 3-line block ×6, first 2 shown]
	v_mul_f16_e32 v142, 0x3836, v86
	v_add_f16_e32 v141, v141, v15
	v_fma_f16 v143, v56, s3, v142
	v_add_f16_e32 v141, v143, v141
	v_mul_f16_e32 v143, 0x3964, v88
	v_fma_f16 v144, v57, s14, v143
	v_add_f16_e32 v141, v144, v141
	v_mul_f16_e32 v144, 0xbb29, v90
	;; [unrolled: 3-line block ×3, first 2 shown]
	s_mov_b32 s22, 0xb1e1
	v_fma_f16 v146, v60, s2, v145
	v_add_f16_e32 v141, v146, v141
	v_mul_f16_e32 v146, 0x3bf7, v94
	v_fma_f16 v69, v46, s22, v69
	v_fma_f16 v147, v61, s19, v146
	v_add_f16_sdwa v69, v69, v15 dst_sel:DWORD dst_unused:UNUSED_PAD src0_sel:DWORD src1_sel:WORD_1
	v_fma_f16 v71, v47, s28, v71
	v_add_f16_e32 v141, v147, v141
	v_mul_f16_e32 v147, 0xb5c8, v96
	v_add_f16_e32 v69, v71, v69
	v_fma_f16 v71, v48, s24, v73
	v_fma_f16 v148, v62, s4, v147
	v_add_f16_e32 v69, v71, v69
	v_fma_f16 v71, v49, s33, v75
	v_add_f16_e32 v141, v148, v141
	v_mul_f16_e32 v148, 0xba62, v98
	v_add_f16_e32 v69, v71, v69
	v_fma_f16 v71, v50, s27, v77
	v_fma_f16 v149, v63, s5, v148
	v_add_f16_e32 v69, v71, v69
	v_fma_f16 v71, v52, s30, v79
	v_add_f16_e32 v141, v149, v141
	v_mul_f16_e32 v149, 0x2de8, v68
	v_add_f16_e32 v69, v71, v69
	v_fma_f16 v71, v53, s29, v81
	v_fma_f16 v150, v46, s34, v149
	v_mul_f16_e32 v151, 0xbbdd, v70
	v_add_f16_e32 v69, v71, v69
	v_fma_f16 v71, v54, s34, v83
	v_add_f16_sdwa v150, v150, v15 dst_sel:DWORD dst_unused:UNUSED_PAD src0_sel:DWORD src1_sel:WORD_1
	v_fma_f16 v152, v47, s25, v151
	v_add_f16_e32 v69, v71, v69
	v_fma_f16 v71, v55, s2, -v85
	v_add_f16_e32 v150, v152, v150
	v_mul_f16_e32 v152, 0xb461, v72
	v_add_f16_e32 v71, v71, v15
	v_fma_f16 v73, v56, s4, -v87
	v_fma_f16 v153, v48, s29, v152
	v_add_f16_e32 v71, v73, v71
	v_fma_f16 v73, v57, s3, -v89
	v_add_f16_e32 v150, v153, v150
	v_mul_f16_e32 v153, 0x3b76, v74
	v_add_f16_e32 v71, v73, v71
	v_fma_f16 v73, v59, s14, -v91
	;; [unrolled: 7-line block ×4, first 2 shown]
	v_fma_f16 v156, v52, s21, v155
	v_add_f16_e32 v71, v73, v71
	v_fma_f16 v73, v46, s24, v100
	v_add_f16_e32 v150, v156, v150
	v_mul_f16_e32 v156, 0xb8d2, v80
	v_add_f16_sdwa v73, v73, v15 dst_sel:DWORD dst_unused:UNUSED_PAD src0_sel:DWORD src1_sel:WORD_1
	v_fma_f16 v75, v47, s30, v101
	v_fma_f16 v157, v53, s27, v156
	v_add_f16_e32 v73, v75, v73
	v_fma_f16 v75, v48, s23, v102
	v_add_f16_e32 v150, v157, v150
	v_mul_f16_e32 v157, 0x39e9, v82
	v_add_f16_e32 v73, v75, v73
	v_fma_f16 v75, v49, s31, v103
	v_fma_f16 v158, v54, s18, v157
	v_add_f16_e32 v73, v75, v73
	v_fma_f16 v75, v50, s15, v104
	v_add_f16_e32 v150, v158, v150
	v_mul_f16_e32 v158, 0xbbf7, v84
	v_add_f16_e32 v73, v75, v73
	v_fma_f16 v75, v52, s22, v105
	v_fma_f16 v159, v55, s19, v158
	v_mul_f16_e32 v160, 0xb1e1, v86
	v_add_f16_e32 v73, v75, v73
	v_fma_f16 v75, v53, s33, v106
	v_add_f16_e32 v159, v159, v15
	v_fma_f16 v161, v56, s2, v160
	;; [unrolled: 2-line block ×3, first 2 shown]
	v_add_f16_e32 v159, v161, v159
	v_mul_f16_e32 v161, 0x3bb2, v88
	v_add_f16_e32 v73, v75, v73
	v_fma_f16 v75, v55, s3, -v108
	v_fma_f16 v162, v57, s17, v161
	v_add_f16_e32 v75, v75, v15
	v_fma_f16 v77, v56, s16, -v109
	v_add_f16_e32 v159, v162, v159
	v_mul_f16_e32 v162, 0x35c8, v90
	v_add_f16_e32 v75, v77, v75
	v_fma_f16 v77, v57, s19, -v110
	v_fma_f16 v163, v59, s4, v162
	v_add_f16_e32 v75, v77, v75
	v_fma_f16 v77, v59, s5, -v111
	;; [unrolled: 7-line block ×4, first 2 shown]
	v_add_f16_e32 v159, v165, v159
	v_mul_f16_e32 v165, 0x3a62, v96
	v_add_f16_e32 v75, v77, v75
	v_fma_f16 v77, v46, s27, v116
	v_fma_f16 v166, v62, s5, v165
	v_add_f16_sdwa v77, v77, v15 dst_sel:DWORD dst_unused:UNUSED_PAD src0_sel:DWORD src1_sel:WORD_1
	v_fma_f16 v79, v47, s26, v117
	v_add_f16_e32 v159, v166, v159
	v_mul_f16_e32 v166, 0x3964, v98
	v_add_f16_e32 v77, v79, v77
	v_fma_f16 v79, v48, s15, v118
	v_fma_f16 v167, v63, s14, v166
	v_add_f16_e32 v77, v79, v77
	v_fma_f16 v79, v49, s24, v119
	v_add_f16_e32 v159, v167, v159
	v_mul_f16_e32 v167, 0x3722, v68
	v_add_f16_e32 v77, v79, v77
	v_fma_f16 v79, v50, s34, v120
	v_fma_f16 v168, v46, s30, v167
	v_mul_f16_e32 v169, 0xb8d2, v70
	v_add_f16_e32 v77, v79, v77
	v_fma_f16 v79, v52, s18, v121
	v_add_f16_sdwa v168, v168, v15 dst_sel:DWORD dst_unused:UNUSED_PAD src0_sel:DWORD src1_sel:WORD_1
	v_fma_f16 v170, v47, s31, v169
	v_add_f16_e32 v77, v79, v77
	v_fma_f16 v79, v53, s22, v122
	v_add_f16_e32 v168, v170, v168
	v_mul_f16_e32 v170, 0xbbdd, v72
	v_add_f16_e32 v77, v79, v77
	v_fma_f16 v79, v54, s30, v123
	v_fma_f16 v171, v48, s22, v170
	v_add_f16_e32 v77, v79, v77
	v_fma_f16 v79, v55, s5, -v124
	v_add_f16_e32 v168, v171, v168
	v_mul_f16_e32 v171, 0xb461, v74
	v_add_f16_e32 v79, v79, v15
	v_fma_f16 v81, v56, s17, -v125
	v_fma_f16 v172, v49, s29, v171
	v_add_f16_e32 v79, v81, v79
	v_fma_f16 v81, v57, s4, -v126
	v_add_f16_e32 v168, v172, v168
	v_mul_f16_e32 v172, 0x39e9, v76
	v_add_f16_e32 v79, v81, v79
	v_fma_f16 v81, v59, s3, -v127
	;; [unrolled: 7-line block ×4, first 2 shown]
	v_fma_f16 v175, v53, s34, v174
	v_add_f16_e32 v79, v81, v79
	v_fma_f16 v81, v46, s29, v132
	v_add_f16_e32 v168, v175, v168
	v_mul_f16_e32 v175, 0xbacd, v82
	v_add_f16_sdwa v81, v81, v15 dst_sel:DWORD dst_unused:UNUSED_PAD src0_sel:DWORD src1_sel:WORD_1
	v_fma_f16 v83, v47, s21, v133
	v_fma_f16 v176, v54, s21, v175
	v_add_f16_e32 v81, v83, v81
	v_fma_f16 v83, v48, s33, v134
	v_add_f16_e32 v168, v176, v168
	v_mul_f16_e32 v176, 0xbb29, v84
	v_add_f16_e32 v81, v83, v81
	v_fma_f16 v83, v49, s20, v135
	v_fma_f16 v177, v55, s16, v176
	v_mul_f16_e32 v178, 0xba62, v86
	v_add_f16_e32 v81, v83, v81
	v_fma_f16 v83, v50, s22, v136
	v_add_f16_e32 v177, v177, v15
	v_fma_f16 v179, v56, s5, v178
	;; [unrolled: 2-line block ×3, first 2 shown]
	v_add_f16_e32 v177, v179, v177
	v_mul_f16_e32 v179, 0x31e1, v88
	v_add_f16_e32 v81, v83, v81
	v_fma_f16 v83, v53, s15, v138
	v_fma_f16 v180, v57, s2, v179
	v_add_f16_e32 v81, v83, v81
	v_fma_f16 v83, v54, s27, v139
	v_add_f16_e32 v177, v180, v177
	v_mul_f16_e32 v180, 0x3bb2, v90
	v_add_f16_e32 v81, v83, v81
	v_fma_f16 v83, v55, s17, -v140
	v_fma_f16 v181, v59, s17, v180
	v_add_f16_e32 v83, v83, v15
	v_fma_f16 v85, v56, s3, -v142
	v_add_f16_e32 v177, v181, v177
	v_mul_f16_e32 v181, 0x3964, v92
	v_add_f16_e32 v83, v85, v83
	v_fma_f16 v85, v57, s14, -v143
	v_fma_f16 v182, v60, s14, v181
	v_add_f16_e32 v83, v85, v83
	v_fma_f16 v85, v59, s16, -v144
	;; [unrolled: 7-line block ×4, first 2 shown]
	v_add_f16_e32 v177, v184, v177
	v_mul_f16_e32 v184, 0xb836, v98
	v_add_f16_e32 v83, v85, v83
	v_fma_f16 v85, v46, s23, v149
	v_fma_f16 v185, v63, s3, v184
	v_add_f16_sdwa v85, v85, v15 dst_sel:DWORD dst_unused:UNUSED_PAD src0_sel:DWORD src1_sel:WORD_1
	v_fma_f16 v87, v47, s22, v151
	v_add_f16_e32 v177, v185, v177
	v_mul_f16_e32 v185, 0x39e9, v68
	v_add_f16_e32 v85, v87, v85
	v_fma_f16 v87, v48, s26, v152
	v_fma_f16 v186, v46, s33, v185
	v_mul_f16_e32 v187, 0x2de8, v70
	v_add_f16_e32 v85, v87, v85
	v_fma_f16 v87, v49, s28, v153
	v_add_f16_sdwa v186, v186, v15 dst_sel:DWORD dst_unused:UNUSED_PAD src0_sel:DWORD src1_sel:WORD_1
	v_fma_f16 v188, v47, s34, v187
	v_add_f16_e32 v85, v87, v85
	v_fma_f16 v87, v50, s20, v154
	v_add_f16_e32 v186, v188, v186
	v_mul_f16_e32 v188, 0xb8d2, v72
	v_add_f16_e32 v85, v87, v85
	v_fma_f16 v87, v52, s24, v155
	v_fma_f16 v189, v48, s31, v188
	v_add_f16_e32 v85, v87, v85
	v_fma_f16 v87, v53, s31, v156
	v_add_f16_e32 v186, v189, v186
	v_mul_f16_e32 v189, 0xbbdd, v74
	v_add_f16_e32 v85, v87, v85
	v_fma_f16 v87, v54, s33, v157
	v_fma_f16 v190, v49, s25, v189
	v_add_f16_e32 v85, v87, v85
	v_fma_f16 v87, v55, s19, -v158
	v_add_f16_e32 v186, v190, v186
	v_mul_f16_e32 v190, 0xbacd, v76
	v_add_f16_e32 v87, v87, v15
	v_fma_f16 v89, v56, s2, -v160
	v_fma_f16 v191, v50, s24, v190
	v_add_f16_e32 v87, v89, v87
	v_fma_f16 v89, v57, s17, -v161
	v_add_f16_e32 v186, v191, v186
	v_mul_f16_e32 v191, 0xb461, v78
	v_add_f16_e32 v87, v89, v87
	v_fma_f16 v89, v59, s4, -v162
	;; [unrolled: 7-line block ×4, first 2 shown]
	v_fma_f16 v194, v54, s15, v193
	v_add_f16_e32 v87, v89, v87
	v_fma_f16 v89, v46, s20, v167
	v_add_f16_e32 v186, v194, v186
	v_mul_f16_e32 v194, 0xb964, v84
	v_add_f16_sdwa v89, v89, v15 dst_sel:DWORD dst_unused:UNUSED_PAD src0_sel:DWORD src1_sel:WORD_1
	v_fma_f16 v91, v47, s27, v169
	v_fma_f16 v195, v55, s14, v194
	v_mul_f16_e32 v196, 0xbbf7, v86
	v_add_f16_e32 v89, v91, v89
	v_fma_f16 v91, v48, s25, v170
	v_add_f16_e32 v195, v195, v15
	v_fma_f16 v197, v56, s19, v196
	;; [unrolled: 2-line block ×3, first 2 shown]
	v_add_f16_e32 v195, v197, v195
	v_mul_f16_e32 v197, 0xba62, v88
	v_add_f16_e32 v89, v91, v89
	v_fma_f16 v91, v50, s33, v172
	v_fma_f16 v198, v57, s5, v197
	v_add_f16_e32 v89, v91, v89
	v_fma_f16 v91, v52, s15, v173
	v_add_f16_e32 v195, v198, v195
	v_mul_f16_e32 v198, 0xb1e1, v90
	v_add_f16_e32 v89, v91, v89
	v_fma_f16 v91, v53, s23, v174
	v_fma_f16 v199, v59, s2, v198
	v_add_f16_e32 v89, v91, v89
	v_fma_f16 v91, v54, s24, v175
	v_add_f16_e32 v195, v199, v195
	v_mul_f16_e32 v199, 0x3836, v92
	v_add_f16_e32 v89, v91, v89
	v_fma_f16 v91, v55, s16, -v176
	v_fma_f16 v200, v60, s3, v199
	v_add_f16_e32 v91, v91, v15
	v_fma_f16 v93, v56, s5, -v178
	v_add_f16_e32 v195, v200, v195
	v_mul_f16_e32 v200, 0x3bb2, v94
	v_add_f16_e32 v91, v93, v91
	v_fma_f16 v93, v57, s2, -v179
	v_fma_f16 v201, v61, s17, v200
	v_add_f16_e32 v91, v93, v91
	v_fma_f16 v93, v59, s17, -v180
	;; [unrolled: 7-line block ×3, first 2 shown]
	v_add_f16_e32 v195, v202, v195
	v_mul_f16_e32 v202, 0x35c8, v98
	v_add_f16_e32 v91, v93, v91
	v_fma_f16 v93, v62, s19, -v183
	v_fma_f16 v203, v63, s4, v202
	v_mul_f16_e32 v68, 0x3b76, v68
	v_add_f16_e32 v91, v93, v91
	v_fma_f16 v93, v63, s3, -v184
	v_add_f16_e32 v195, v203, v195
	v_fma_f16 v203, v46, s28, v68
	v_mul_f16_e32 v70, 0x39e9, v70
	v_add_f16_e32 v91, v93, v91
	v_fma_f16 v93, v46, s18, v185
	v_fma_f16 v46, v46, s15, v68
	v_add_f16_sdwa v203, v203, v15 dst_sel:DWORD dst_unused:UNUSED_PAD src0_sel:DWORD src1_sel:WORD_1
	v_fma_f16 v204, v47, s33, v70
	v_mul_f16_e32 v72, 0x3722, v72
	v_add_f16_sdwa v93, v93, v15 dst_sel:DWORD dst_unused:UNUSED_PAD src0_sel:DWORD src1_sel:WORD_1
	v_fma_f16 v95, v47, s23, v187
	v_add_f16_sdwa v46, v46, v15 dst_sel:DWORD dst_unused:UNUSED_PAD src0_sel:DWORD src1_sel:WORD_1
	v_fma_f16 v47, v47, s18, v70
	v_add_f16_e32 v203, v204, v203
	v_fma_f16 v204, v48, s30, v72
	v_mul_f16_e32 v74, 0x2de8, v74
	v_add_f16_e32 v93, v95, v93
	v_fma_f16 v95, v48, s27, v188
	v_add_f16_e32 v46, v47, v46
	v_fma_f16 v47, v48, s20, v72
	v_add_f16_e32 v203, v204, v203
	v_fma_f16 v204, v49, s34, v74
	v_mul_f16_e32 v76, 0xb461, v76
	v_add_f16_e32 v93, v95, v93
	v_fma_f16 v95, v49, s22, v189
	v_add_f16_e32 v46, v47, v46
	;; [unrolled: 7-line block ×6, first 2 shown]
	v_fma_f16 v47, v54, s22, v82
	v_add_f16_e32 v203, v204, v203
	v_fma_f16 v204, v55, s4, v84
	v_add_f16_e32 v93, v95, v93
	v_fma_f16 v95, v55, s14, -v194
	v_add_f16_e32 v46, v47, v46
	v_fma_f16 v47, v55, s4, -v84
	v_add_f16_e32 v204, v204, v15
	v_add_f16_e32 v95, v95, v15
	;; [unrolled: 1-line block ×3, first 2 shown]
	v_add_f16_sdwa v23, v23, v15 dst_sel:DWORD dst_unused:UNUSED_PAD src0_sel:DWORD src1_sel:WORD_1
	v_add_f16_e32 v15, v16, v15
	v_add_f16_e32 v23, v41, v23
	;; [unrolled: 1-line block ×14, first 2 shown]
	v_add_f16_sdwa v9, v40, v9 dst_sel:DWORD dst_unused:UNUSED_PAD src0_sel:WORD_1 src1_sel:DWORD
	v_mul_f16_e32 v86, 0xb964, v86
	v_add_f16_e32 v23, v38, v23
	v_add_f16_e32 v9, v39, v9
	v_fma_f16 v205, v56, s14, v86
	v_mul_f16_e32 v88, 0xbb29, v88
	v_add_f16_e32 v23, v36, v23
	v_add_f16_e32 v7, v7, v9
	v_add_f16_e32 v204, v205, v204
	v_fma_f16 v205, v57, s16, v88
	v_mul_f16_e32 v90, 0xbbf7, v90
	v_add_f16_e32 v23, v37, v23
	;; [unrolled: 5-line block ×4, first 2 shown]
	v_add_f16_sdwa v7, v39, v7 dst_sel:DWORD dst_unused:UNUSED_PAD src0_sel:WORD_1 src1_sel:DWORD
	v_add_f16_e32 v204, v205, v204
	v_fma_f16 v205, v61, s5, v94
	v_mul_f16_e32 v96, 0xb836, v96
	v_add_f16_e32 v23, v35, v23
	v_add_f16_e32 v5, v5, v7
	;; [unrolled: 1-line block ×3, first 2 shown]
	v_fma_f16 v205, v62, s3, v96
	v_mul_f16_e32 v98, 0xb1e1, v98
	v_add_f16_e32 v23, v32, v23
	v_add_f16_e32 v5, v6, v5
	;; [unrolled: 1-line block ×3, first 2 shown]
	v_fma_f16 v205, v63, s2, v98
	v_add_f16_sdwa v23, v40, v23 dst_sel:WORD_1 dst_unused:UNUSED_PAD src0_sel:DWORD src1_sel:DWORD
	v_add_f16_e32 v5, v28, v5
	v_add_f16_e32 v204, v205, v204
	v_fma_f16 v97, v56, s19, -v196
	v_fma_f16 v48, v56, s14, -v86
	v_or_b32_e32 v5, v23, v5
	v_lshl_add_u32 v6, v29, 2, v27
	v_add_f16_e32 v95, v97, v95
	v_fma_f16 v97, v57, s5, -v197
	v_add_f16_e32 v47, v48, v47
	v_fma_f16 v48, v57, s16, -v88
	ds_write_b32 v6, v5
	v_pack_b32_f16 v5, v195, v186
	v_pack_b32_f16 v7, v204, v203
	v_add_f16_e32 v95, v97, v95
	v_fma_f16 v97, v59, s2, -v198
	v_add_f16_e32 v47, v48, v47
	v_fma_f16 v48, v59, s19, -v90
	ds_write2_b32 v6, v7, v5 offset0:1 offset1:2
	v_pack_b32_f16 v5, v159, v150
	v_pack_b32_f16 v7, v177, v168
	v_add_f16_e32 v95, v97, v95
	v_fma_f16 v97, v60, s3, -v199
	v_add_f16_e32 v47, v48, v47
	v_fma_f16 v48, v60, s17, -v92
	ds_write2_b32 v6, v7, v5 offset0:3 offset1:4
	;; [unrolled: 7-line block ×5, first 2 shown]
	v_pack_b32_f16 v5, v83, v81
	v_pack_b32_f16 v7, v79, v77
	v_add_f16_e32 v95, v97, v95
	v_add_f16_e32 v47, v48, v47
	ds_write2_b32 v6, v7, v5 offset0:11 offset1:12
	v_pack_b32_f16 v5, v91, v89
	v_pack_b32_f16 v7, v87, v85
	ds_write2_b32 v6, v7, v5 offset0:13 offset1:14
	v_pack_b32_f16 v5, v47, v46
	v_pack_b32_f16 v7, v95, v93
	ds_write2_b32 v6, v7, v5 offset0:15 offset1:16
.LBB0_13:
	s_or_b64 exec, exec, s[0:1]
	s_waitcnt lgkmcnt(0)
	s_barrier
	ds_read2_b32 v[5:6], v22 offset1:17
	ds_read2_b32 v[7:8], v22 offset0:34 offset1:51
	ds_read2_b32 v[9:10], v22 offset0:68 offset1:85
	ds_read_b32 v12, v22 offset:408
	s_movk_i32 s0, 0x2b26
	s_waitcnt lgkmcnt(3)
	v_lshrrev_b32_e32 v11, 16, v6
	v_mul_f16_sdwa v20, v0, v11 dst_sel:DWORD dst_unused:UNUSED_PAD src0_sel:WORD_1 src1_sel:DWORD
	s_waitcnt lgkmcnt(2)
	v_lshrrev_b32_e32 v15, 16, v7
	v_fma_f16 v20, v0, v6, v20
	v_mul_f16_sdwa v6, v0, v6 dst_sel:DWORD dst_unused:UNUSED_PAD src0_sel:WORD_1 src1_sel:DWORD
	v_fma_f16 v0, v0, v11, -v6
	v_mul_f16_sdwa v6, v1, v15 dst_sel:DWORD dst_unused:UNUSED_PAD src0_sel:WORD_1 src1_sel:DWORD
	v_lshrrev_b32_e32 v16, 16, v8
	v_fma_f16 v6, v1, v7, v6
	v_mul_f16_sdwa v7, v1, v7 dst_sel:DWORD dst_unused:UNUSED_PAD src0_sel:WORD_1 src1_sel:DWORD
	v_fma_f16 v1, v1, v15, -v7
	v_mul_f16_sdwa v7, v2, v16 dst_sel:DWORD dst_unused:UNUSED_PAD src0_sel:WORD_1 src1_sel:DWORD
	s_waitcnt lgkmcnt(1)
	v_lshrrev_b32_e32 v17, 16, v9
	v_fma_f16 v7, v2, v8, v7
	v_mul_f16_sdwa v8, v2, v8 dst_sel:DWORD dst_unused:UNUSED_PAD src0_sel:WORD_1 src1_sel:DWORD
	v_fma_f16 v2, v2, v16, -v8
	v_mul_f16_sdwa v8, v3, v17 dst_sel:DWORD dst_unused:UNUSED_PAD src0_sel:WORD_1 src1_sel:DWORD
	v_lshrrev_b32_e32 v18, 16, v10
	s_waitcnt lgkmcnt(0)
	v_lshrrev_b32_e32 v19, 16, v12
	v_fma_f16 v8, v3, v9, v8
	v_mul_f16_sdwa v9, v3, v9 dst_sel:DWORD dst_unused:UNUSED_PAD src0_sel:WORD_1 src1_sel:DWORD
	v_fma_f16 v3, v3, v17, -v9
	v_mul_f16_sdwa v9, v13, v18 dst_sel:DWORD dst_unused:UNUSED_PAD src0_sel:WORD_1 src1_sel:DWORD
	v_mul_f16_sdwa v11, v14, v19 dst_sel:DWORD dst_unused:UNUSED_PAD src0_sel:WORD_1 src1_sel:DWORD
	v_fma_f16 v9, v13, v10, v9
	v_mul_f16_sdwa v10, v13, v10 dst_sel:DWORD dst_unused:UNUSED_PAD src0_sel:WORD_1 src1_sel:DWORD
	v_fma_f16 v11, v14, v12, v11
	v_mul_f16_sdwa v12, v14, v12 dst_sel:DWORD dst_unused:UNUSED_PAD src0_sel:WORD_1 src1_sel:DWORD
	v_fma_f16 v10, v13, v18, -v10
	v_fma_f16 v12, v14, v19, -v12
	v_add_f16_e32 v13, v20, v11
	v_add_f16_e32 v14, v0, v12
	v_sub_f16_e32 v0, v0, v12
	v_add_f16_e32 v12, v6, v9
	v_add_f16_e32 v15, v1, v10
	v_sub_f16_e32 v6, v6, v9
	v_sub_f16_e32 v1, v1, v10
	v_add_f16_e32 v9, v7, v8
	v_add_f16_e32 v10, v2, v3
	v_sub_f16_e32 v7, v8, v7
	v_sub_f16_e32 v2, v3, v2
	v_add_f16_e32 v3, v12, v13
	v_add_f16_e32 v8, v15, v14
	;; [unrolled: 1-line block ×4, first 2 shown]
	v_sub_f16_e32 v11, v20, v11
	v_sub_f16_e32 v16, v12, v13
	;; [unrolled: 1-line block ×6, first 2 shown]
	v_add_f16_e32 v18, v7, v6
	v_add_f16_e32 v10, v3, v5
	v_add_f16_sdwa v5, v8, v5 dst_sel:DWORD dst_unused:UNUSED_PAD src0_sel:DWORD src1_sel:WORD_1
	v_sub_f16_e32 v12, v9, v12
	v_add_f16_e32 v19, v2, v1
	v_sub_f16_e32 v20, v7, v6
	v_sub_f16_e32 v7, v11, v7
	;; [unrolled: 1-line block ×3, first 2 shown]
	v_add_f16_e32 v9, v18, v11
	v_lshlrev_b32_e32 v11, 16, v5
	v_mul_f16_e32 v13, 0x3a52, v13
	v_mul_f16_e32 v14, 0x3a52, v14
	s_mov_b32 s2, 0xbcab
	v_sub_f16_e32 v22, v2, v1
	v_sub_f16_e32 v2, v0, v2
	;; [unrolled: 1-line block ×3, first 2 shown]
	v_add_f16_e32 v0, v19, v0
	v_or_b32_e32 v11, v11, v10
	v_mul_f16_e32 v18, 0x2b26, v12
	v_mul_f16_e32 v19, 0x2b26, v15
	v_fma_f16 v3, v3, s2, v10
	v_fma_f16 v5, v8, s2, v5
	;; [unrolled: 1-line block ×4, first 2 shown]
	s_movk_i32 s0, 0x39e0
	v_fma_f16 v12, v16, s0, -v18
	v_fma_f16 v15, v17, s0, -v19
	s_mov_b32 s0, 0xb9e0
	v_mul_f16_e32 v20, 0x3846, v20
	v_mul_f16_e32 v22, 0x3846, v22
	v_fma_f16 v13, v16, s0, -v13
	v_fma_f16 v14, v17, s0, -v14
	s_mov_b32 s0, 0xb574
	s_mov_b32 s1, 0xbb00
	v_mul_f16_e32 v23, 0xbb00, v6
	v_mul_f16_e32 v27, 0xbb00, v1
	v_fma_f16 v16, v7, s0, v20
	v_fma_f16 v17, v2, s0, v22
	s_movk_i32 s0, 0x3574
	v_fma_f16 v6, v6, s1, -v20
	v_fma_f16 v1, v1, s1, -v22
	;; [unrolled: 1-line block ×4, first 2 shown]
	s_mov_b32 s0, 0xb70e
	v_add_f16_e32 v8, v8, v3
	v_add_f16_e32 v10, v10, v5
	v_add_f16_e32 v12, v12, v3
	v_add_f16_e32 v15, v15, v5
	v_add_f16_e32 v3, v13, v3
	v_add_f16_e32 v5, v14, v5
	v_fma_f16 v13, v9, s0, v16
	v_fma_f16 v14, v0, s0, v17
	;; [unrolled: 1-line block ×6, first 2 shown]
	v_add_f16_e32 v2, v14, v8
	v_sub_f16_e32 v9, v10, v13
	v_add_f16_e32 v16, v0, v3
	v_sub_f16_e32 v18, v12, v1
	v_add_f16_e32 v19, v6, v15
	v_add_f16_e32 v1, v1, v12
	v_sub_f16_e32 v6, v15, v6
	v_sub_f16_e32 v0, v3, v0
	v_add_f16_e32 v3, v7, v5
	v_sub_f16_e32 v17, v5, v7
	v_sub_f16_e32 v5, v8, v14
	v_add_f16_e32 v7, v13, v10
	v_pack_b32_f16 v2, v2, v9
	v_pack_b32_f16 v1, v1, v6
	;; [unrolled: 1-line block ×3, first 2 shown]
	ds_write2_b32 v21, v11, v2 offset1:17
	v_pack_b32_f16 v2, v16, v17
	v_pack_b32_f16 v8, v18, v19
	ds_write2_b32 v21, v1, v0 offset0:68 offset1:85
	v_pack_b32_f16 v0, v5, v7
	ds_write2_b32 v21, v2, v8 offset0:34 offset1:51
	ds_write_b32 v21, v0 offset:408
	s_waitcnt lgkmcnt(0)
	s_barrier
	s_and_b64 exec, exec, vcc
	s_cbranch_execz .LBB0_15
; %bb.14:
	global_load_dword v8, v25, s[6:7]
	v_mad_u64_u32 v[5:6], s[0:1], s8, v24, 0
	v_mad_u64_u32 v[1:2], s[0:1], s10, v4, 0
	ds_read_b32 v9, v21
	v_mov_b32_e32 v3, v6
	v_mad_u64_u32 v[6:7], s[0:1], s11, v4, v[2:3]
	v_mad_u64_u32 v[3:4], s[0:1], s9, v24, v[3:4]
	s_waitcnt lgkmcnt(0)
	v_lshrrev_b32_e32 v4, 16, v9
	v_mov_b32_e32 v2, v6
	v_mov_b32_e32 v6, v3
	s_mov_b32 s14, 0x1135c811
	s_mov_b32 s15, 0x3f8135c8
	v_lshlrev_b64 v[1:2], 2, v[1:2]
	v_mov_b32_e32 v10, s13
	v_lshlrev_b64 v[5:6], 2, v[5:6]
	v_add_co_u32_e32 v1, vcc, s12, v1
	v_addc_co_u32_e32 v2, vcc, v10, v2, vcc
	s_movk_i32 s16, 0x1ff
	v_add_co_u32_e32 v5, vcc, v1, v5
	v_addc_co_u32_e32 v6, vcc, v2, v6, vcc
	s_movk_i32 s10, 0xffe
	v_mov_b32_e32 v0, 0x7c00
	s_movk_i32 s18, 0x40f
	s_mov_b32 s17, 0x8000
	s_mul_hi_u32 s12, s8, 28
	s_mul_i32 s11, s8, 28
	s_waitcnt vmcnt(0)
	v_mul_f16_sdwa v3, v4, v8 dst_sel:DWORD dst_unused:UNUSED_PAD src0_sel:DWORD src1_sel:WORD_1
	v_fma_f16 v3, v9, v8, v3
	v_mul_f16_sdwa v7, v9, v8 dst_sel:DWORD dst_unused:UNUSED_PAD src0_sel:DWORD src1_sel:WORD_1
	v_cvt_f32_f16_e32 v3, v3
	v_fma_f16 v4, v8, v4, -v7
	v_cvt_f32_f16_e32 v7, v4
	v_cvt_f64_f32_e32 v[3:4], v3
	v_cvt_f64_f32_e32 v[7:8], v7
	v_mul_f64 v[3:4], v[3:4], s[14:15]
	v_mul_f64 v[7:8], v[7:8], s[14:15]
	v_and_or_b32 v3, v4, s16, v3
	v_cmp_ne_u32_e32 vcc, 0, v3
	v_and_or_b32 v7, v8, s16, v7
	v_lshrrev_b32_e32 v9, 8, v4
	v_bfe_u32 v10, v4, 20, 11
	v_cndmask_b32_e64 v3, 0, 1, vcc
	v_cmp_ne_u32_e32 vcc, 0, v7
	v_lshrrev_b32_e32 v11, 8, v8
	v_bfe_u32 v12, v8, 20, 11
	v_sub_u32_e32 v13, 0x3f1, v10
	v_cndmask_b32_e64 v7, 0, 1, vcc
	v_and_or_b32 v3, v9, s10, v3
	v_sub_u32_e32 v14, 0x3f1, v12
	v_med3_i32 v9, v13, 0, 13
	v_and_or_b32 v7, v11, s10, v7
	v_or_b32_e32 v13, 0x1000, v3
	v_add_u32_e32 v10, 0xfffffc10, v10
	v_med3_i32 v11, v14, 0, 13
	v_cmp_ne_u32_e32 vcc, 0, v3
	v_or_b32_e32 v15, 0x1000, v7
	v_lshrrev_b32_e32 v17, v9, v13
	v_add_u32_e32 v12, 0xfffffc10, v12
	v_lshl_or_b32 v14, v10, 12, v3
	v_cndmask_b32_e64 v3, 0, 1, vcc
	v_cmp_ne_u32_e32 vcc, 0, v7
	v_lshrrev_b32_e32 v18, v11, v15
	v_lshlrev_b32_e32 v9, v9, v17
	v_lshl_or_b32 v16, v12, 12, v7
	v_cndmask_b32_e64 v7, 0, 1, vcc
	v_lshlrev_b32_e32 v11, v11, v18
	v_cmp_ne_u32_e32 vcc, v9, v13
	v_cndmask_b32_e64 v9, 0, 1, vcc
	v_cmp_ne_u32_e32 vcc, v11, v15
	v_cndmask_b32_e64 v11, 0, 1, vcc
	v_or_b32_e32 v9, v17, v9
	v_cmp_gt_i32_e32 vcc, 1, v10
	v_cndmask_b32_e32 v9, v14, v9, vcc
	v_or_b32_e32 v11, v18, v11
	v_cmp_gt_i32_e32 vcc, 1, v12
	v_and_b32_e32 v13, 7, v9
	v_cndmask_b32_e32 v11, v16, v11, vcc
	v_cmp_lt_i32_e32 vcc, 5, v13
	v_cmp_eq_u32_e64 s[0:1], 3, v13
	v_lshrrev_b32_e32 v9, 2, v9
	v_and_b32_e32 v14, 7, v11
	s_or_b64 vcc, s[0:1], vcc
	v_cmp_lt_i32_e64 s[2:3], 5, v14
	v_cmp_eq_u32_e64 s[4:5], 3, v14
	v_addc_co_u32_e32 v9, vcc, 0, v9, vcc
	v_lshrrev_b32_e32 v11, 2, v11
	s_or_b64 vcc, s[4:5], s[2:3]
	v_addc_co_u32_e32 v11, vcc, 0, v11, vcc
	v_cmp_gt_i32_e32 vcc, 31, v10
	v_cndmask_b32_e32 v9, v0, v9, vcc
	v_cmp_gt_i32_e32 vcc, 31, v12
	v_lshl_or_b32 v3, v3, 9, v0
	v_cndmask_b32_e32 v11, v0, v11, vcc
	v_cmp_eq_u32_e32 vcc, s18, v10
	v_lshrrev_b32_e32 v4, 16, v4
	v_lshl_or_b32 v7, v7, 9, v0
	v_cndmask_b32_e32 v3, v9, v3, vcc
	v_cmp_eq_u32_e32 vcc, s18, v12
	v_lshrrev_b32_e32 v8, 16, v8
	v_cndmask_b32_e32 v7, v11, v7, vcc
	v_and_or_b32 v3, v4, s17, v3
	v_and_or_b32 v4, v8, s17, v7
	v_and_b32_e32 v3, 0xffff, v3
	v_lshl_or_b32 v3, v4, 16, v3
	global_store_dword v[5:6], v3, off
	global_load_dword v7, v25, s[6:7] offset:28
	ds_read2_b32 v[3:4], v21 offset0:7 offset1:14
	s_mul_i32 s0, s9, 28
	s_add_i32 s12, s12, s0
	v_add_co_u32_e32 v5, vcc, s11, v5
	s_waitcnt lgkmcnt(0)
	v_lshrrev_b32_e32 v8, 16, v3
	s_waitcnt vmcnt(0)
	v_mul_f16_sdwa v9, v8, v7 dst_sel:DWORD dst_unused:UNUSED_PAD src0_sel:DWORD src1_sel:WORD_1
	v_fma_f16 v9, v3, v7, v9
	v_mul_f16_sdwa v3, v3, v7 dst_sel:DWORD dst_unused:UNUSED_PAD src0_sel:DWORD src1_sel:WORD_1
	v_cvt_f32_f16_e32 v9, v9
	v_fma_f16 v3, v7, v8, -v3
	v_cvt_f32_f16_e32 v3, v3
	v_cvt_f64_f32_e32 v[7:8], v9
	v_cvt_f64_f32_e32 v[9:10], v3
	v_mov_b32_e32 v3, s12
	v_mul_f64 v[7:8], v[7:8], s[14:15]
	v_addc_co_u32_e32 v6, vcc, v6, v3, vcc
	v_mul_f64 v[9:10], v[9:10], s[14:15]
	v_and_or_b32 v3, v8, s16, v7
	v_cmp_ne_u32_e32 vcc, 0, v3
	v_lshrrev_b32_e32 v7, 8, v8
	v_and_or_b32 v9, v10, s16, v9
	v_bfe_u32 v11, v8, 20, 11
	v_cndmask_b32_e64 v3, 0, 1, vcc
	v_cmp_ne_u32_e32 vcc, 0, v9
	v_lshrrev_b32_e32 v12, 8, v10
	v_bfe_u32 v13, v10, 20, 11
	v_sub_u32_e32 v14, 0x3f1, v11
	v_cndmask_b32_e64 v9, 0, 1, vcc
	v_and_or_b32 v3, v7, s10, v3
	v_sub_u32_e32 v15, 0x3f1, v13
	v_med3_i32 v7, v14, 0, 13
	v_and_or_b32 v9, v12, s10, v9
	v_or_b32_e32 v14, 0x1000, v3
	v_add_u32_e32 v11, 0xfffffc10, v11
	v_med3_i32 v12, v15, 0, 13
	v_cmp_ne_u32_e32 vcc, 0, v3
	v_or_b32_e32 v16, 0x1000, v9
	v_lshrrev_b32_e32 v18, v7, v14
	v_add_u32_e32 v13, 0xfffffc10, v13
	v_lshl_or_b32 v15, v11, 12, v3
	v_cndmask_b32_e64 v3, 0, 1, vcc
	v_cmp_ne_u32_e32 vcc, 0, v9
	v_lshrrev_b32_e32 v19, v12, v16
	v_lshlrev_b32_e32 v7, v7, v18
	v_lshl_or_b32 v17, v13, 12, v9
	v_cndmask_b32_e64 v9, 0, 1, vcc
	v_lshlrev_b32_e32 v12, v12, v19
	v_cmp_ne_u32_e32 vcc, v7, v14
	v_cndmask_b32_e64 v7, 0, 1, vcc
	v_cmp_ne_u32_e32 vcc, v12, v16
	v_cndmask_b32_e64 v12, 0, 1, vcc
	v_or_b32_e32 v7, v18, v7
	v_cmp_gt_i32_e32 vcc, 1, v11
	v_cndmask_b32_e32 v7, v15, v7, vcc
	v_or_b32_e32 v12, v19, v12
	v_cmp_gt_i32_e32 vcc, 1, v13
	v_and_b32_e32 v14, 7, v7
	v_cndmask_b32_e32 v12, v17, v12, vcc
	v_cmp_lt_i32_e32 vcc, 5, v14
	v_cmp_eq_u32_e64 s[0:1], 3, v14
	v_lshrrev_b32_e32 v7, 2, v7
	v_and_b32_e32 v15, 7, v12
	s_or_b64 vcc, s[0:1], vcc
	v_cmp_lt_i32_e64 s[2:3], 5, v15
	v_cmp_eq_u32_e64 s[4:5], 3, v15
	v_addc_co_u32_e32 v7, vcc, 0, v7, vcc
	v_lshrrev_b32_e32 v12, 2, v12
	s_or_b64 vcc, s[4:5], s[2:3]
	v_addc_co_u32_e32 v12, vcc, 0, v12, vcc
	v_cmp_gt_i32_e32 vcc, 31, v11
	v_cndmask_b32_e32 v7, v0, v7, vcc
	v_cmp_gt_i32_e32 vcc, 31, v13
	v_lshl_or_b32 v3, v3, 9, v0
	v_cndmask_b32_e32 v12, v0, v12, vcc
	v_cmp_eq_u32_e32 vcc, s18, v11
	v_lshrrev_b32_e32 v8, 16, v8
	v_lshl_or_b32 v9, v9, 9, v0
	v_cndmask_b32_e32 v3, v7, v3, vcc
	v_cmp_eq_u32_e32 vcc, s18, v13
	v_lshrrev_b32_e32 v10, 16, v10
	v_cndmask_b32_e32 v7, v12, v9, vcc
	v_and_or_b32 v3, v8, s17, v3
	v_and_or_b32 v7, v10, s17, v7
	v_and_b32_e32 v3, 0xffff, v3
	v_lshl_or_b32 v3, v7, 16, v3
	global_store_dword v[5:6], v3, off
	global_load_dword v3, v25, s[6:7] offset:56
	v_lshrrev_b32_e32 v7, 16, v4
	v_mov_b32_e32 v9, s12
	v_add_co_u32_e32 v5, vcc, s11, v5
	v_addc_co_u32_e32 v6, vcc, v6, v9, vcc
	s_waitcnt vmcnt(0)
	v_mul_f16_sdwa v8, v7, v3 dst_sel:DWORD dst_unused:UNUSED_PAD src0_sel:DWORD src1_sel:WORD_1
	v_fma_f16 v8, v4, v3, v8
	v_mul_f16_sdwa v4, v4, v3 dst_sel:DWORD dst_unused:UNUSED_PAD src0_sel:DWORD src1_sel:WORD_1
	v_cvt_f32_f16_e32 v8, v8
	v_fma_f16 v3, v3, v7, -v4
	v_cvt_f32_f16_e32 v7, v3
	v_cvt_f64_f32_e32 v[3:4], v8
	v_cvt_f64_f32_e32 v[7:8], v7
	v_mul_f64 v[3:4], v[3:4], s[14:15]
	v_mul_f64 v[7:8], v[7:8], s[14:15]
	v_and_or_b32 v3, v4, s16, v3
	v_cmp_ne_u32_e32 vcc, 0, v3
	v_and_or_b32 v7, v8, s16, v7
	v_lshrrev_b32_e32 v9, 8, v4
	v_bfe_u32 v10, v4, 20, 11
	v_cndmask_b32_e64 v3, 0, 1, vcc
	v_cmp_ne_u32_e32 vcc, 0, v7
	v_lshrrev_b32_e32 v11, 8, v8
	v_bfe_u32 v12, v8, 20, 11
	v_sub_u32_e32 v13, 0x3f1, v10
	v_cndmask_b32_e64 v7, 0, 1, vcc
	v_and_or_b32 v3, v9, s10, v3
	v_sub_u32_e32 v14, 0x3f1, v12
	v_med3_i32 v9, v13, 0, 13
	v_and_or_b32 v7, v11, s10, v7
	v_or_b32_e32 v13, 0x1000, v3
	v_add_u32_e32 v10, 0xfffffc10, v10
	v_med3_i32 v11, v14, 0, 13
	v_cmp_ne_u32_e32 vcc, 0, v3
	v_or_b32_e32 v15, 0x1000, v7
	v_lshrrev_b32_e32 v17, v9, v13
	v_add_u32_e32 v12, 0xfffffc10, v12
	v_lshl_or_b32 v14, v10, 12, v3
	v_cndmask_b32_e64 v3, 0, 1, vcc
	v_cmp_ne_u32_e32 vcc, 0, v7
	v_lshrrev_b32_e32 v18, v11, v15
	v_lshlrev_b32_e32 v9, v9, v17
	v_lshl_or_b32 v16, v12, 12, v7
	v_cndmask_b32_e64 v7, 0, 1, vcc
	v_lshlrev_b32_e32 v11, v11, v18
	v_cmp_ne_u32_e32 vcc, v9, v13
	v_cndmask_b32_e64 v9, 0, 1, vcc
	v_cmp_ne_u32_e32 vcc, v11, v15
	v_cndmask_b32_e64 v11, 0, 1, vcc
	v_or_b32_e32 v9, v17, v9
	v_cmp_gt_i32_e32 vcc, 1, v10
	v_cndmask_b32_e32 v9, v14, v9, vcc
	v_or_b32_e32 v11, v18, v11
	v_cmp_gt_i32_e32 vcc, 1, v12
	v_and_b32_e32 v13, 7, v9
	v_cndmask_b32_e32 v11, v16, v11, vcc
	v_cmp_lt_i32_e32 vcc, 5, v13
	v_cmp_eq_u32_e64 s[0:1], 3, v13
	v_lshrrev_b32_e32 v9, 2, v9
	v_and_b32_e32 v14, 7, v11
	s_or_b64 vcc, s[0:1], vcc
	v_cmp_lt_i32_e64 s[2:3], 5, v14
	v_cmp_eq_u32_e64 s[4:5], 3, v14
	v_addc_co_u32_e32 v9, vcc, 0, v9, vcc
	v_lshrrev_b32_e32 v11, 2, v11
	s_or_b64 vcc, s[4:5], s[2:3]
	v_addc_co_u32_e32 v11, vcc, 0, v11, vcc
	v_cmp_gt_i32_e32 vcc, 31, v10
	v_cndmask_b32_e32 v9, v0, v9, vcc
	v_cmp_gt_i32_e32 vcc, 31, v12
	v_lshl_or_b32 v3, v3, 9, v0
	v_cndmask_b32_e32 v11, v0, v11, vcc
	v_cmp_eq_u32_e32 vcc, s18, v10
	v_lshrrev_b32_e32 v4, 16, v4
	v_lshl_or_b32 v7, v7, 9, v0
	v_cndmask_b32_e32 v3, v9, v3, vcc
	v_cmp_eq_u32_e32 vcc, s18, v12
	v_lshrrev_b32_e32 v8, 16, v8
	v_cndmask_b32_e32 v7, v11, v7, vcc
	v_and_or_b32 v3, v4, s17, v3
	v_and_or_b32 v4, v8, s17, v7
	v_and_b32_e32 v3, 0xffff, v3
	v_lshl_or_b32 v3, v4, 16, v3
	global_store_dword v[5:6], v3, off
	global_load_dword v7, v25, s[6:7] offset:84
	ds_read2_b32 v[3:4], v21 offset0:21 offset1:28
	v_add_co_u32_e32 v5, vcc, s11, v5
	s_waitcnt lgkmcnt(0)
	v_lshrrev_b32_e32 v8, 16, v3
	s_waitcnt vmcnt(0)
	v_mul_f16_sdwa v9, v8, v7 dst_sel:DWORD dst_unused:UNUSED_PAD src0_sel:DWORD src1_sel:WORD_1
	v_fma_f16 v9, v3, v7, v9
	v_mul_f16_sdwa v3, v3, v7 dst_sel:DWORD dst_unused:UNUSED_PAD src0_sel:DWORD src1_sel:WORD_1
	v_cvt_f32_f16_e32 v9, v9
	v_fma_f16 v3, v7, v8, -v3
	v_cvt_f32_f16_e32 v3, v3
	v_cvt_f64_f32_e32 v[7:8], v9
	v_cvt_f64_f32_e32 v[9:10], v3
	v_mov_b32_e32 v3, s12
	v_mul_f64 v[7:8], v[7:8], s[14:15]
	v_addc_co_u32_e32 v6, vcc, v6, v3, vcc
	v_mul_f64 v[9:10], v[9:10], s[14:15]
	v_and_or_b32 v3, v8, s16, v7
	v_cmp_ne_u32_e32 vcc, 0, v3
	v_lshrrev_b32_e32 v7, 8, v8
	v_and_or_b32 v9, v10, s16, v9
	v_bfe_u32 v11, v8, 20, 11
	v_cndmask_b32_e64 v3, 0, 1, vcc
	v_cmp_ne_u32_e32 vcc, 0, v9
	v_lshrrev_b32_e32 v12, 8, v10
	v_bfe_u32 v13, v10, 20, 11
	v_sub_u32_e32 v14, 0x3f1, v11
	v_cndmask_b32_e64 v9, 0, 1, vcc
	v_and_or_b32 v3, v7, s10, v3
	v_sub_u32_e32 v15, 0x3f1, v13
	v_med3_i32 v7, v14, 0, 13
	v_and_or_b32 v9, v12, s10, v9
	v_or_b32_e32 v14, 0x1000, v3
	v_add_u32_e32 v11, 0xfffffc10, v11
	v_med3_i32 v12, v15, 0, 13
	v_cmp_ne_u32_e32 vcc, 0, v3
	v_or_b32_e32 v16, 0x1000, v9
	v_lshrrev_b32_e32 v18, v7, v14
	v_add_u32_e32 v13, 0xfffffc10, v13
	v_lshl_or_b32 v15, v11, 12, v3
	v_cndmask_b32_e64 v3, 0, 1, vcc
	v_cmp_ne_u32_e32 vcc, 0, v9
	v_lshrrev_b32_e32 v19, v12, v16
	v_lshlrev_b32_e32 v7, v7, v18
	v_lshl_or_b32 v17, v13, 12, v9
	v_cndmask_b32_e64 v9, 0, 1, vcc
	v_lshlrev_b32_e32 v12, v12, v19
	v_cmp_ne_u32_e32 vcc, v7, v14
	v_cndmask_b32_e64 v7, 0, 1, vcc
	v_cmp_ne_u32_e32 vcc, v12, v16
	v_cndmask_b32_e64 v12, 0, 1, vcc
	v_or_b32_e32 v7, v18, v7
	v_cmp_gt_i32_e32 vcc, 1, v11
	v_cndmask_b32_e32 v7, v15, v7, vcc
	v_or_b32_e32 v12, v19, v12
	v_cmp_gt_i32_e32 vcc, 1, v13
	v_and_b32_e32 v14, 7, v7
	v_cndmask_b32_e32 v12, v17, v12, vcc
	v_cmp_lt_i32_e32 vcc, 5, v14
	v_cmp_eq_u32_e64 s[0:1], 3, v14
	v_lshrrev_b32_e32 v7, 2, v7
	v_and_b32_e32 v15, 7, v12
	s_or_b64 vcc, s[0:1], vcc
	v_cmp_lt_i32_e64 s[2:3], 5, v15
	v_cmp_eq_u32_e64 s[4:5], 3, v15
	v_addc_co_u32_e32 v7, vcc, 0, v7, vcc
	v_lshrrev_b32_e32 v12, 2, v12
	s_or_b64 vcc, s[4:5], s[2:3]
	v_addc_co_u32_e32 v12, vcc, 0, v12, vcc
	v_cmp_gt_i32_e32 vcc, 31, v11
	v_cndmask_b32_e32 v7, v0, v7, vcc
	v_cmp_gt_i32_e32 vcc, 31, v13
	v_lshl_or_b32 v3, v3, 9, v0
	v_cndmask_b32_e32 v12, v0, v12, vcc
	v_cmp_eq_u32_e32 vcc, s18, v11
	v_lshrrev_b32_e32 v8, 16, v8
	v_lshl_or_b32 v9, v9, 9, v0
	v_cndmask_b32_e32 v3, v7, v3, vcc
	v_cmp_eq_u32_e32 vcc, s18, v13
	v_lshrrev_b32_e32 v10, 16, v10
	v_cndmask_b32_e32 v7, v12, v9, vcc
	v_and_or_b32 v3, v8, s17, v3
	v_and_or_b32 v7, v10, s17, v7
	v_and_b32_e32 v3, 0xffff, v3
	v_lshl_or_b32 v3, v7, 16, v3
	global_store_dword v[5:6], v3, off
	global_load_dword v3, v25, s[6:7] offset:112
	v_lshrrev_b32_e32 v7, 16, v4
	v_mov_b32_e32 v9, s12
	v_add_co_u32_e32 v5, vcc, s11, v5
	v_addc_co_u32_e32 v6, vcc, v6, v9, vcc
	s_waitcnt vmcnt(0)
	v_mul_f16_sdwa v8, v7, v3 dst_sel:DWORD dst_unused:UNUSED_PAD src0_sel:DWORD src1_sel:WORD_1
	v_fma_f16 v8, v4, v3, v8
	v_mul_f16_sdwa v4, v4, v3 dst_sel:DWORD dst_unused:UNUSED_PAD src0_sel:DWORD src1_sel:WORD_1
	v_cvt_f32_f16_e32 v8, v8
	v_fma_f16 v3, v3, v7, -v4
	v_cvt_f32_f16_e32 v7, v3
	v_cvt_f64_f32_e32 v[3:4], v8
	v_cvt_f64_f32_e32 v[7:8], v7
	v_mul_f64 v[3:4], v[3:4], s[14:15]
	v_mul_f64 v[7:8], v[7:8], s[14:15]
	v_and_or_b32 v3, v4, s16, v3
	v_cmp_ne_u32_e32 vcc, 0, v3
	v_and_or_b32 v7, v8, s16, v7
	v_lshrrev_b32_e32 v9, 8, v4
	v_bfe_u32 v10, v4, 20, 11
	v_cndmask_b32_e64 v3, 0, 1, vcc
	v_cmp_ne_u32_e32 vcc, 0, v7
	v_lshrrev_b32_e32 v11, 8, v8
	v_bfe_u32 v12, v8, 20, 11
	v_sub_u32_e32 v13, 0x3f1, v10
	v_cndmask_b32_e64 v7, 0, 1, vcc
	v_and_or_b32 v3, v9, s10, v3
	v_sub_u32_e32 v14, 0x3f1, v12
	v_med3_i32 v9, v13, 0, 13
	v_and_or_b32 v7, v11, s10, v7
	v_or_b32_e32 v13, 0x1000, v3
	v_add_u32_e32 v10, 0xfffffc10, v10
	v_med3_i32 v11, v14, 0, 13
	v_cmp_ne_u32_e32 vcc, 0, v3
	v_or_b32_e32 v15, 0x1000, v7
	v_lshrrev_b32_e32 v17, v9, v13
	v_add_u32_e32 v12, 0xfffffc10, v12
	v_lshl_or_b32 v14, v10, 12, v3
	v_cndmask_b32_e64 v3, 0, 1, vcc
	v_cmp_ne_u32_e32 vcc, 0, v7
	v_lshrrev_b32_e32 v18, v11, v15
	v_lshlrev_b32_e32 v9, v9, v17
	v_lshl_or_b32 v16, v12, 12, v7
	v_cndmask_b32_e64 v7, 0, 1, vcc
	v_lshlrev_b32_e32 v11, v11, v18
	v_cmp_ne_u32_e32 vcc, v9, v13
	v_cndmask_b32_e64 v9, 0, 1, vcc
	v_cmp_ne_u32_e32 vcc, v11, v15
	v_cndmask_b32_e64 v11, 0, 1, vcc
	v_or_b32_e32 v9, v17, v9
	v_cmp_gt_i32_e32 vcc, 1, v10
	v_cndmask_b32_e32 v9, v14, v9, vcc
	v_or_b32_e32 v11, v18, v11
	v_cmp_gt_i32_e32 vcc, 1, v12
	v_and_b32_e32 v13, 7, v9
	v_cndmask_b32_e32 v11, v16, v11, vcc
	v_cmp_lt_i32_e32 vcc, 5, v13
	v_cmp_eq_u32_e64 s[0:1], 3, v13
	v_lshrrev_b32_e32 v9, 2, v9
	v_and_b32_e32 v14, 7, v11
	s_or_b64 vcc, s[0:1], vcc
	v_cmp_lt_i32_e64 s[2:3], 5, v14
	v_cmp_eq_u32_e64 s[4:5], 3, v14
	v_addc_co_u32_e32 v9, vcc, 0, v9, vcc
	v_lshrrev_b32_e32 v11, 2, v11
	s_or_b64 vcc, s[4:5], s[2:3]
	v_addc_co_u32_e32 v11, vcc, 0, v11, vcc
	v_cmp_gt_i32_e32 vcc, 31, v10
	v_cndmask_b32_e32 v9, v0, v9, vcc
	v_cmp_gt_i32_e32 vcc, 31, v12
	v_lshl_or_b32 v3, v3, 9, v0
	v_cndmask_b32_e32 v11, v0, v11, vcc
	v_cmp_eq_u32_e32 vcc, s18, v10
	v_lshrrev_b32_e32 v4, 16, v4
	v_lshl_or_b32 v7, v7, 9, v0
	v_cndmask_b32_e32 v3, v9, v3, vcc
	v_cmp_eq_u32_e32 vcc, s18, v12
	v_lshrrev_b32_e32 v8, 16, v8
	v_cndmask_b32_e32 v7, v11, v7, vcc
	v_and_or_b32 v3, v4, s17, v3
	v_and_or_b32 v4, v8, s17, v7
	v_and_b32_e32 v3, 0xffff, v3
	v_lshl_or_b32 v3, v4, 16, v3
	global_store_dword v[5:6], v3, off
	global_load_dword v7, v25, s[6:7] offset:140
	ds_read2_b32 v[3:4], v21 offset0:35 offset1:42
	v_add_co_u32_e32 v5, vcc, s11, v5
	s_waitcnt lgkmcnt(0)
	v_lshrrev_b32_e32 v8, 16, v3
	s_waitcnt vmcnt(0)
	v_mul_f16_sdwa v9, v8, v7 dst_sel:DWORD dst_unused:UNUSED_PAD src0_sel:DWORD src1_sel:WORD_1
	v_fma_f16 v9, v3, v7, v9
	v_mul_f16_sdwa v3, v3, v7 dst_sel:DWORD dst_unused:UNUSED_PAD src0_sel:DWORD src1_sel:WORD_1
	v_cvt_f32_f16_e32 v9, v9
	v_fma_f16 v3, v7, v8, -v3
	v_cvt_f32_f16_e32 v3, v3
	v_cvt_f64_f32_e32 v[7:8], v9
	v_cvt_f64_f32_e32 v[9:10], v3
	v_mov_b32_e32 v3, s12
	v_mul_f64 v[7:8], v[7:8], s[14:15]
	v_addc_co_u32_e32 v6, vcc, v6, v3, vcc
	v_mul_f64 v[9:10], v[9:10], s[14:15]
	v_and_or_b32 v3, v8, s16, v7
	v_cmp_ne_u32_e32 vcc, 0, v3
	v_lshrrev_b32_e32 v7, 8, v8
	v_and_or_b32 v9, v10, s16, v9
	v_bfe_u32 v11, v8, 20, 11
	v_cndmask_b32_e64 v3, 0, 1, vcc
	v_cmp_ne_u32_e32 vcc, 0, v9
	v_lshrrev_b32_e32 v12, 8, v10
	v_bfe_u32 v13, v10, 20, 11
	v_sub_u32_e32 v14, 0x3f1, v11
	v_cndmask_b32_e64 v9, 0, 1, vcc
	v_and_or_b32 v3, v7, s10, v3
	v_sub_u32_e32 v15, 0x3f1, v13
	v_med3_i32 v7, v14, 0, 13
	v_and_or_b32 v9, v12, s10, v9
	v_or_b32_e32 v14, 0x1000, v3
	v_add_u32_e32 v11, 0xfffffc10, v11
	v_med3_i32 v12, v15, 0, 13
	v_cmp_ne_u32_e32 vcc, 0, v3
	v_or_b32_e32 v16, 0x1000, v9
	v_lshrrev_b32_e32 v18, v7, v14
	v_add_u32_e32 v13, 0xfffffc10, v13
	v_lshl_or_b32 v15, v11, 12, v3
	v_cndmask_b32_e64 v3, 0, 1, vcc
	v_cmp_ne_u32_e32 vcc, 0, v9
	v_lshrrev_b32_e32 v19, v12, v16
	v_lshlrev_b32_e32 v7, v7, v18
	v_lshl_or_b32 v17, v13, 12, v9
	v_cndmask_b32_e64 v9, 0, 1, vcc
	v_lshlrev_b32_e32 v12, v12, v19
	v_cmp_ne_u32_e32 vcc, v7, v14
	v_cndmask_b32_e64 v7, 0, 1, vcc
	v_cmp_ne_u32_e32 vcc, v12, v16
	v_cndmask_b32_e64 v12, 0, 1, vcc
	v_or_b32_e32 v7, v18, v7
	v_cmp_gt_i32_e32 vcc, 1, v11
	v_cndmask_b32_e32 v7, v15, v7, vcc
	v_or_b32_e32 v12, v19, v12
	v_cmp_gt_i32_e32 vcc, 1, v13
	v_and_b32_e32 v14, 7, v7
	v_cndmask_b32_e32 v12, v17, v12, vcc
	v_cmp_lt_i32_e32 vcc, 5, v14
	v_cmp_eq_u32_e64 s[0:1], 3, v14
	v_lshrrev_b32_e32 v7, 2, v7
	v_and_b32_e32 v15, 7, v12
	s_or_b64 vcc, s[0:1], vcc
	v_cmp_lt_i32_e64 s[2:3], 5, v15
	v_cmp_eq_u32_e64 s[4:5], 3, v15
	v_addc_co_u32_e32 v7, vcc, 0, v7, vcc
	v_lshrrev_b32_e32 v12, 2, v12
	s_or_b64 vcc, s[4:5], s[2:3]
	v_addc_co_u32_e32 v12, vcc, 0, v12, vcc
	v_cmp_gt_i32_e32 vcc, 31, v11
	v_cndmask_b32_e32 v7, v0, v7, vcc
	v_cmp_gt_i32_e32 vcc, 31, v13
	v_lshl_or_b32 v3, v3, 9, v0
	v_cndmask_b32_e32 v12, v0, v12, vcc
	v_cmp_eq_u32_e32 vcc, s18, v11
	v_lshrrev_b32_e32 v8, 16, v8
	v_lshl_or_b32 v9, v9, 9, v0
	v_cndmask_b32_e32 v3, v7, v3, vcc
	v_cmp_eq_u32_e32 vcc, s18, v13
	v_lshrrev_b32_e32 v10, 16, v10
	v_cndmask_b32_e32 v7, v12, v9, vcc
	v_and_or_b32 v3, v8, s17, v3
	v_and_or_b32 v7, v10, s17, v7
	v_and_b32_e32 v3, 0xffff, v3
	v_lshl_or_b32 v3, v7, 16, v3
	global_store_dword v[5:6], v3, off
	global_load_dword v3, v25, s[6:7] offset:168
	v_lshrrev_b32_e32 v7, 16, v4
	v_mov_b32_e32 v9, s12
	v_add_co_u32_e32 v5, vcc, s11, v5
	v_addc_co_u32_e32 v6, vcc, v6, v9, vcc
	s_waitcnt vmcnt(0)
	v_mul_f16_sdwa v8, v7, v3 dst_sel:DWORD dst_unused:UNUSED_PAD src0_sel:DWORD src1_sel:WORD_1
	v_fma_f16 v8, v4, v3, v8
	v_mul_f16_sdwa v4, v4, v3 dst_sel:DWORD dst_unused:UNUSED_PAD src0_sel:DWORD src1_sel:WORD_1
	v_cvt_f32_f16_e32 v8, v8
	v_fma_f16 v3, v3, v7, -v4
	v_cvt_f32_f16_e32 v7, v3
	v_cvt_f64_f32_e32 v[3:4], v8
	v_cvt_f64_f32_e32 v[7:8], v7
	v_mul_f64 v[3:4], v[3:4], s[14:15]
	v_mul_f64 v[7:8], v[7:8], s[14:15]
	v_and_or_b32 v3, v4, s16, v3
	v_cmp_ne_u32_e32 vcc, 0, v3
	v_and_or_b32 v7, v8, s16, v7
	v_lshrrev_b32_e32 v9, 8, v4
	v_bfe_u32 v10, v4, 20, 11
	v_cndmask_b32_e64 v3, 0, 1, vcc
	v_cmp_ne_u32_e32 vcc, 0, v7
	v_lshrrev_b32_e32 v11, 8, v8
	v_bfe_u32 v12, v8, 20, 11
	v_sub_u32_e32 v13, 0x3f1, v10
	v_cndmask_b32_e64 v7, 0, 1, vcc
	v_and_or_b32 v3, v9, s10, v3
	v_sub_u32_e32 v14, 0x3f1, v12
	v_med3_i32 v9, v13, 0, 13
	v_and_or_b32 v7, v11, s10, v7
	v_or_b32_e32 v13, 0x1000, v3
	v_add_u32_e32 v10, 0xfffffc10, v10
	v_med3_i32 v11, v14, 0, 13
	v_cmp_ne_u32_e32 vcc, 0, v3
	v_or_b32_e32 v15, 0x1000, v7
	v_lshrrev_b32_e32 v17, v9, v13
	v_add_u32_e32 v12, 0xfffffc10, v12
	v_lshl_or_b32 v14, v10, 12, v3
	v_cndmask_b32_e64 v3, 0, 1, vcc
	v_cmp_ne_u32_e32 vcc, 0, v7
	v_lshrrev_b32_e32 v18, v11, v15
	v_lshlrev_b32_e32 v9, v9, v17
	v_lshl_or_b32 v16, v12, 12, v7
	v_cndmask_b32_e64 v7, 0, 1, vcc
	v_lshlrev_b32_e32 v11, v11, v18
	v_cmp_ne_u32_e32 vcc, v9, v13
	v_cndmask_b32_e64 v9, 0, 1, vcc
	v_cmp_ne_u32_e32 vcc, v11, v15
	v_cndmask_b32_e64 v11, 0, 1, vcc
	v_or_b32_e32 v9, v17, v9
	v_cmp_gt_i32_e32 vcc, 1, v10
	v_cndmask_b32_e32 v9, v14, v9, vcc
	v_or_b32_e32 v11, v18, v11
	v_cmp_gt_i32_e32 vcc, 1, v12
	v_and_b32_e32 v13, 7, v9
	v_cndmask_b32_e32 v11, v16, v11, vcc
	v_cmp_lt_i32_e32 vcc, 5, v13
	v_cmp_eq_u32_e64 s[0:1], 3, v13
	v_lshrrev_b32_e32 v9, 2, v9
	v_and_b32_e32 v14, 7, v11
	s_or_b64 vcc, s[0:1], vcc
	v_cmp_lt_i32_e64 s[2:3], 5, v14
	v_cmp_eq_u32_e64 s[4:5], 3, v14
	v_addc_co_u32_e32 v9, vcc, 0, v9, vcc
	v_lshrrev_b32_e32 v11, 2, v11
	s_or_b64 vcc, s[4:5], s[2:3]
	v_addc_co_u32_e32 v11, vcc, 0, v11, vcc
	v_cmp_gt_i32_e32 vcc, 31, v10
	v_cndmask_b32_e32 v9, v0, v9, vcc
	v_cmp_gt_i32_e32 vcc, 31, v12
	v_lshl_or_b32 v3, v3, 9, v0
	v_cndmask_b32_e32 v11, v0, v11, vcc
	v_cmp_eq_u32_e32 vcc, s18, v10
	v_lshrrev_b32_e32 v4, 16, v4
	v_lshl_or_b32 v7, v7, 9, v0
	v_cndmask_b32_e32 v3, v9, v3, vcc
	v_cmp_eq_u32_e32 vcc, s18, v12
	v_lshrrev_b32_e32 v8, 16, v8
	v_cndmask_b32_e32 v7, v11, v7, vcc
	v_and_or_b32 v3, v4, s17, v3
	v_and_or_b32 v4, v8, s17, v7
	v_and_b32_e32 v3, 0xffff, v3
	v_lshl_or_b32 v3, v4, 16, v3
	global_store_dword v[5:6], v3, off
	global_load_dword v7, v25, s[6:7] offset:196
	ds_read2_b32 v[3:4], v21 offset0:49 offset1:56
	v_add_co_u32_e32 v5, vcc, s11, v5
	s_waitcnt lgkmcnt(0)
	v_lshrrev_b32_e32 v8, 16, v3
	s_waitcnt vmcnt(0)
	v_mul_f16_sdwa v9, v8, v7 dst_sel:DWORD dst_unused:UNUSED_PAD src0_sel:DWORD src1_sel:WORD_1
	v_fma_f16 v9, v3, v7, v9
	v_mul_f16_sdwa v3, v3, v7 dst_sel:DWORD dst_unused:UNUSED_PAD src0_sel:DWORD src1_sel:WORD_1
	v_cvt_f32_f16_e32 v9, v9
	v_fma_f16 v3, v7, v8, -v3
	v_cvt_f32_f16_e32 v3, v3
	v_cvt_f64_f32_e32 v[7:8], v9
	v_cvt_f64_f32_e32 v[9:10], v3
	v_mov_b32_e32 v3, s12
	v_mul_f64 v[7:8], v[7:8], s[14:15]
	v_addc_co_u32_e32 v6, vcc, v6, v3, vcc
	v_mul_f64 v[9:10], v[9:10], s[14:15]
	v_and_or_b32 v3, v8, s16, v7
	v_cmp_ne_u32_e32 vcc, 0, v3
	v_lshrrev_b32_e32 v7, 8, v8
	v_and_or_b32 v9, v10, s16, v9
	v_bfe_u32 v11, v8, 20, 11
	v_cndmask_b32_e64 v3, 0, 1, vcc
	v_cmp_ne_u32_e32 vcc, 0, v9
	v_lshrrev_b32_e32 v12, 8, v10
	v_bfe_u32 v13, v10, 20, 11
	v_sub_u32_e32 v14, 0x3f1, v11
	v_cndmask_b32_e64 v9, 0, 1, vcc
	v_and_or_b32 v3, v7, s10, v3
	v_sub_u32_e32 v15, 0x3f1, v13
	v_med3_i32 v7, v14, 0, 13
	v_and_or_b32 v9, v12, s10, v9
	v_or_b32_e32 v14, 0x1000, v3
	v_add_u32_e32 v11, 0xfffffc10, v11
	v_med3_i32 v12, v15, 0, 13
	v_cmp_ne_u32_e32 vcc, 0, v3
	v_or_b32_e32 v16, 0x1000, v9
	v_lshrrev_b32_e32 v18, v7, v14
	v_add_u32_e32 v13, 0xfffffc10, v13
	v_lshl_or_b32 v15, v11, 12, v3
	v_cndmask_b32_e64 v3, 0, 1, vcc
	v_cmp_ne_u32_e32 vcc, 0, v9
	v_lshrrev_b32_e32 v19, v12, v16
	v_lshlrev_b32_e32 v7, v7, v18
	v_lshl_or_b32 v17, v13, 12, v9
	v_cndmask_b32_e64 v9, 0, 1, vcc
	v_lshlrev_b32_e32 v12, v12, v19
	v_cmp_ne_u32_e32 vcc, v7, v14
	v_cndmask_b32_e64 v7, 0, 1, vcc
	v_cmp_ne_u32_e32 vcc, v12, v16
	v_cndmask_b32_e64 v12, 0, 1, vcc
	v_or_b32_e32 v7, v18, v7
	v_cmp_gt_i32_e32 vcc, 1, v11
	v_cndmask_b32_e32 v7, v15, v7, vcc
	v_or_b32_e32 v12, v19, v12
	v_cmp_gt_i32_e32 vcc, 1, v13
	v_and_b32_e32 v14, 7, v7
	v_cndmask_b32_e32 v12, v17, v12, vcc
	v_cmp_lt_i32_e32 vcc, 5, v14
	v_cmp_eq_u32_e64 s[0:1], 3, v14
	v_lshrrev_b32_e32 v7, 2, v7
	v_and_b32_e32 v15, 7, v12
	s_or_b64 vcc, s[0:1], vcc
	v_cmp_lt_i32_e64 s[2:3], 5, v15
	v_cmp_eq_u32_e64 s[4:5], 3, v15
	v_addc_co_u32_e32 v7, vcc, 0, v7, vcc
	v_lshrrev_b32_e32 v12, 2, v12
	s_or_b64 vcc, s[4:5], s[2:3]
	v_addc_co_u32_e32 v12, vcc, 0, v12, vcc
	v_cmp_gt_i32_e32 vcc, 31, v11
	v_cndmask_b32_e32 v7, v0, v7, vcc
	v_cmp_gt_i32_e32 vcc, 31, v13
	v_lshl_or_b32 v3, v3, 9, v0
	v_cndmask_b32_e32 v12, v0, v12, vcc
	v_cmp_eq_u32_e32 vcc, s18, v11
	v_lshrrev_b32_e32 v8, 16, v8
	v_lshl_or_b32 v9, v9, 9, v0
	v_cndmask_b32_e32 v3, v7, v3, vcc
	v_cmp_eq_u32_e32 vcc, s18, v13
	v_lshrrev_b32_e32 v10, 16, v10
	v_cndmask_b32_e32 v7, v12, v9, vcc
	v_and_or_b32 v3, v8, s17, v3
	v_and_or_b32 v7, v10, s17, v7
	v_and_b32_e32 v3, 0xffff, v3
	v_lshl_or_b32 v3, v7, 16, v3
	global_store_dword v[5:6], v3, off
	global_load_dword v9, v25, s[6:7] offset:224
	v_mad_u64_u32 v[7:8], s[0:1], s8, v26, 0
	v_mov_b32_e32 v3, v8
	v_lshrrev_b32_e32 v8, 16, v4
	s_waitcnt vmcnt(0)
	v_mul_f16_sdwa v10, v8, v9 dst_sel:DWORD dst_unused:UNUSED_PAD src0_sel:DWORD src1_sel:WORD_1
	v_fma_f16 v10, v4, v9, v10
	v_mul_f16_sdwa v4, v4, v9 dst_sel:DWORD dst_unused:UNUSED_PAD src0_sel:DWORD src1_sel:WORD_1
	v_cvt_f32_f16_e32 v10, v10
	v_fma_f16 v4, v9, v8, -v4
	v_cvt_f32_f16_e32 v11, v4
	v_mad_u64_u32 v[3:4], s[0:1], s9, v26, v[3:4]
	v_cvt_f64_f32_e32 v[8:9], v10
	v_cvt_f64_f32_e32 v[10:11], v11
	v_mul_f64 v[12:13], v[8:9], s[14:15]
	v_mov_b32_e32 v8, v3
	v_lshlrev_b64 v[3:4], 2, v[7:8]
	v_mul_f64 v[7:8], v[10:11], s[14:15]
	v_add_co_u32_e32 v3, vcc, v1, v3
	v_addc_co_u32_e32 v4, vcc, v2, v4, vcc
	v_and_or_b32 v9, v13, s16, v12
	v_cmp_ne_u32_e32 vcc, 0, v9
	v_lshrrev_b32_e32 v10, 8, v13
	v_and_or_b32 v7, v8, s16, v7
	v_bfe_u32 v11, v13, 20, 11
	v_cndmask_b32_e64 v9, 0, 1, vcc
	v_cmp_ne_u32_e32 vcc, 0, v7
	v_lshrrev_b32_e32 v12, 16, v13
	v_lshrrev_b32_e32 v13, 8, v8
	v_bfe_u32 v14, v8, 20, 11
	v_sub_u32_e32 v15, 0x3f1, v11
	v_cndmask_b32_e64 v7, 0, 1, vcc
	v_and_or_b32 v9, v10, s10, v9
	v_sub_u32_e32 v16, 0x3f1, v14
	v_med3_i32 v10, v15, 0, 13
	v_and_or_b32 v7, v13, s10, v7
	v_or_b32_e32 v15, 0x1000, v9
	v_add_u32_e32 v11, 0xfffffc10, v11
	v_med3_i32 v13, v16, 0, 13
	v_cmp_ne_u32_e32 vcc, 0, v9
	v_or_b32_e32 v17, 0x1000, v7
	v_lshrrev_b32_e32 v19, v10, v15
	v_add_u32_e32 v14, 0xfffffc10, v14
	v_lshl_or_b32 v16, v11, 12, v9
	v_cndmask_b32_e64 v9, 0, 1, vcc
	v_cmp_ne_u32_e32 vcc, 0, v7
	v_lshrrev_b32_e32 v20, v13, v17
	v_lshlrev_b32_e32 v10, v10, v19
	v_lshl_or_b32 v18, v14, 12, v7
	v_cndmask_b32_e64 v7, 0, 1, vcc
	v_lshlrev_b32_e32 v13, v13, v20
	v_cmp_ne_u32_e32 vcc, v10, v15
	v_cndmask_b32_e64 v10, 0, 1, vcc
	v_cmp_ne_u32_e32 vcc, v13, v17
	v_cndmask_b32_e64 v13, 0, 1, vcc
	v_or_b32_e32 v10, v19, v10
	v_cmp_gt_i32_e32 vcc, 1, v11
	v_cndmask_b32_e32 v10, v16, v10, vcc
	v_or_b32_e32 v13, v20, v13
	v_cmp_gt_i32_e32 vcc, 1, v14
	v_and_b32_e32 v15, 7, v10
	v_cndmask_b32_e32 v13, v18, v13, vcc
	v_cmp_lt_i32_e32 vcc, 5, v15
	v_cmp_eq_u32_e64 s[0:1], 3, v15
	v_lshrrev_b32_e32 v10, 2, v10
	v_and_b32_e32 v16, 7, v13
	s_or_b64 vcc, s[0:1], vcc
	v_cmp_lt_i32_e64 s[2:3], 5, v16
	v_cmp_eq_u32_e64 s[4:5], 3, v16
	v_addc_co_u32_e32 v10, vcc, 0, v10, vcc
	v_lshrrev_b32_e32 v13, 2, v13
	s_or_b64 vcc, s[4:5], s[2:3]
	v_addc_co_u32_e32 v13, vcc, 0, v13, vcc
	v_cmp_gt_i32_e32 vcc, 31, v11
	v_cndmask_b32_e32 v10, v0, v10, vcc
	v_cmp_gt_i32_e32 vcc, 31, v14
	v_lshl_or_b32 v9, v9, 9, v0
	v_cndmask_b32_e32 v13, v0, v13, vcc
	v_cmp_eq_u32_e32 vcc, s18, v11
	v_lshl_or_b32 v7, v7, 9, v0
	v_cndmask_b32_e32 v9, v10, v9, vcc
	v_cmp_eq_u32_e32 vcc, s18, v14
	v_lshrrev_b32_e32 v8, 16, v8
	v_cndmask_b32_e32 v7, v13, v7, vcc
	v_and_or_b32 v9, v12, s17, v9
	v_and_or_b32 v7, v8, s17, v7
	v_and_b32_e32 v8, 0xffff, v9
	v_lshl_or_b32 v7, v7, 16, v8
	global_store_dword v[3:4], v7, off
	global_load_dword v7, v25, s[6:7] offset:252
	ds_read2_b32 v[3:4], v21 offset0:63 offset1:70
	v_mad_u64_u32 v[5:6], s[0:1], s8, 56, v[5:6]
	s_waitcnt lgkmcnt(0)
	v_lshrrev_b32_e32 v8, 16, v3
	s_waitcnt vmcnt(0)
	v_mul_f16_sdwa v9, v8, v7 dst_sel:DWORD dst_unused:UNUSED_PAD src0_sel:DWORD src1_sel:WORD_1
	v_fma_f16 v9, v3, v7, v9
	v_mul_f16_sdwa v3, v3, v7 dst_sel:DWORD dst_unused:UNUSED_PAD src0_sel:DWORD src1_sel:WORD_1
	v_cvt_f32_f16_e32 v9, v9
	v_fma_f16 v3, v7, v8, -v3
	v_cvt_f32_f16_e32 v3, v3
	v_cvt_f64_f32_e32 v[7:8], v9
	v_cvt_f64_f32_e32 v[9:10], v3
	v_mov_b32_e32 v3, v6
	v_mul_f64 v[7:8], v[7:8], s[14:15]
	v_mad_u64_u32 v[11:12], s[0:1], s9, 56, v[3:4]
	v_mul_f64 v[9:10], v[9:10], s[14:15]
	v_mov_b32_e32 v6, v11
	v_and_or_b32 v3, v8, s16, v7
	v_cmp_ne_u32_e32 vcc, 0, v3
	v_lshrrev_b32_e32 v7, 8, v8
	v_and_or_b32 v9, v10, s16, v9
	v_bfe_u32 v11, v8, 20, 11
	v_cndmask_b32_e64 v3, 0, 1, vcc
	v_cmp_ne_u32_e32 vcc, 0, v9
	v_lshrrev_b32_e32 v12, 8, v10
	v_bfe_u32 v13, v10, 20, 11
	v_sub_u32_e32 v14, 0x3f1, v11
	v_cndmask_b32_e64 v9, 0, 1, vcc
	v_and_or_b32 v3, v7, s10, v3
	v_sub_u32_e32 v15, 0x3f1, v13
	v_med3_i32 v7, v14, 0, 13
	v_and_or_b32 v9, v12, s10, v9
	v_or_b32_e32 v14, 0x1000, v3
	v_add_u32_e32 v11, 0xfffffc10, v11
	v_med3_i32 v12, v15, 0, 13
	v_cmp_ne_u32_e32 vcc, 0, v3
	v_or_b32_e32 v16, 0x1000, v9
	v_lshrrev_b32_e32 v18, v7, v14
	v_add_u32_e32 v13, 0xfffffc10, v13
	v_lshl_or_b32 v15, v11, 12, v3
	v_cndmask_b32_e64 v3, 0, 1, vcc
	v_cmp_ne_u32_e32 vcc, 0, v9
	v_lshrrev_b32_e32 v19, v12, v16
	v_lshlrev_b32_e32 v7, v7, v18
	v_lshl_or_b32 v17, v13, 12, v9
	v_cndmask_b32_e64 v9, 0, 1, vcc
	v_lshlrev_b32_e32 v12, v12, v19
	v_cmp_ne_u32_e32 vcc, v7, v14
	v_cndmask_b32_e64 v7, 0, 1, vcc
	v_cmp_ne_u32_e32 vcc, v12, v16
	v_cndmask_b32_e64 v12, 0, 1, vcc
	v_or_b32_e32 v7, v18, v7
	v_cmp_gt_i32_e32 vcc, 1, v11
	v_cndmask_b32_e32 v7, v15, v7, vcc
	v_or_b32_e32 v12, v19, v12
	v_cmp_gt_i32_e32 vcc, 1, v13
	v_and_b32_e32 v14, 7, v7
	v_cndmask_b32_e32 v12, v17, v12, vcc
	v_cmp_lt_i32_e32 vcc, 5, v14
	v_cmp_eq_u32_e64 s[0:1], 3, v14
	v_lshrrev_b32_e32 v7, 2, v7
	v_and_b32_e32 v15, 7, v12
	s_or_b64 vcc, s[0:1], vcc
	v_cmp_lt_i32_e64 s[2:3], 5, v15
	v_cmp_eq_u32_e64 s[4:5], 3, v15
	v_addc_co_u32_e32 v7, vcc, 0, v7, vcc
	v_lshrrev_b32_e32 v12, 2, v12
	s_or_b64 vcc, s[4:5], s[2:3]
	v_addc_co_u32_e32 v12, vcc, 0, v12, vcc
	v_cmp_gt_i32_e32 vcc, 31, v11
	v_cndmask_b32_e32 v7, v0, v7, vcc
	v_cmp_gt_i32_e32 vcc, 31, v13
	v_lshl_or_b32 v3, v3, 9, v0
	v_cndmask_b32_e32 v12, v0, v12, vcc
	v_cmp_eq_u32_e32 vcc, s18, v11
	v_lshrrev_b32_e32 v8, 16, v8
	v_lshl_or_b32 v9, v9, 9, v0
	v_cndmask_b32_e32 v3, v7, v3, vcc
	v_cmp_eq_u32_e32 vcc, s18, v13
	v_lshrrev_b32_e32 v10, 16, v10
	v_cndmask_b32_e32 v7, v12, v9, vcc
	v_and_or_b32 v3, v8, s17, v3
	v_and_or_b32 v7, v10, s17, v7
	v_and_b32_e32 v3, 0xffff, v3
	v_lshl_or_b32 v3, v7, 16, v3
	global_store_dword v[5:6], v3, off
	global_load_dword v3, v25, s[6:7] offset:280
	v_lshrrev_b32_e32 v7, 16, v4
	v_mov_b32_e32 v9, s12
	v_add_co_u32_e32 v5, vcc, s11, v5
	v_addc_co_u32_e32 v6, vcc, v6, v9, vcc
	s_waitcnt vmcnt(0)
	v_mul_f16_sdwa v8, v7, v3 dst_sel:DWORD dst_unused:UNUSED_PAD src0_sel:DWORD src1_sel:WORD_1
	v_fma_f16 v8, v4, v3, v8
	v_mul_f16_sdwa v4, v4, v3 dst_sel:DWORD dst_unused:UNUSED_PAD src0_sel:DWORD src1_sel:WORD_1
	v_cvt_f32_f16_e32 v8, v8
	v_fma_f16 v3, v3, v7, -v4
	v_cvt_f32_f16_e32 v7, v3
	v_cvt_f64_f32_e32 v[3:4], v8
	v_cvt_f64_f32_e32 v[7:8], v7
	v_mul_f64 v[3:4], v[3:4], s[14:15]
	v_mul_f64 v[7:8], v[7:8], s[14:15]
	v_and_or_b32 v3, v4, s16, v3
	v_cmp_ne_u32_e32 vcc, 0, v3
	v_and_or_b32 v7, v8, s16, v7
	v_lshrrev_b32_e32 v9, 8, v4
	v_bfe_u32 v10, v4, 20, 11
	v_cndmask_b32_e64 v3, 0, 1, vcc
	v_cmp_ne_u32_e32 vcc, 0, v7
	v_lshrrev_b32_e32 v11, 8, v8
	v_bfe_u32 v12, v8, 20, 11
	v_sub_u32_e32 v13, 0x3f1, v10
	v_cndmask_b32_e64 v7, 0, 1, vcc
	v_and_or_b32 v3, v9, s10, v3
	v_sub_u32_e32 v14, 0x3f1, v12
	v_med3_i32 v9, v13, 0, 13
	v_and_or_b32 v7, v11, s10, v7
	v_or_b32_e32 v13, 0x1000, v3
	v_add_u32_e32 v10, 0xfffffc10, v10
	v_med3_i32 v11, v14, 0, 13
	v_cmp_ne_u32_e32 vcc, 0, v3
	v_or_b32_e32 v15, 0x1000, v7
	v_lshrrev_b32_e32 v17, v9, v13
	v_add_u32_e32 v12, 0xfffffc10, v12
	v_lshl_or_b32 v14, v10, 12, v3
	v_cndmask_b32_e64 v3, 0, 1, vcc
	v_cmp_ne_u32_e32 vcc, 0, v7
	v_lshrrev_b32_e32 v18, v11, v15
	v_lshlrev_b32_e32 v9, v9, v17
	v_lshl_or_b32 v16, v12, 12, v7
	v_cndmask_b32_e64 v7, 0, 1, vcc
	v_lshlrev_b32_e32 v11, v11, v18
	v_cmp_ne_u32_e32 vcc, v9, v13
	v_cndmask_b32_e64 v9, 0, 1, vcc
	v_cmp_ne_u32_e32 vcc, v11, v15
	v_cndmask_b32_e64 v11, 0, 1, vcc
	v_or_b32_e32 v9, v17, v9
	v_cmp_gt_i32_e32 vcc, 1, v10
	v_cndmask_b32_e32 v9, v14, v9, vcc
	v_or_b32_e32 v11, v18, v11
	v_cmp_gt_i32_e32 vcc, 1, v12
	v_and_b32_e32 v13, 7, v9
	v_cndmask_b32_e32 v11, v16, v11, vcc
	v_cmp_lt_i32_e32 vcc, 5, v13
	v_cmp_eq_u32_e64 s[0:1], 3, v13
	v_lshrrev_b32_e32 v9, 2, v9
	v_and_b32_e32 v14, 7, v11
	s_or_b64 vcc, s[0:1], vcc
	v_cmp_lt_i32_e64 s[2:3], 5, v14
	v_cmp_eq_u32_e64 s[4:5], 3, v14
	v_addc_co_u32_e32 v9, vcc, 0, v9, vcc
	v_lshrrev_b32_e32 v11, 2, v11
	s_or_b64 vcc, s[4:5], s[2:3]
	v_addc_co_u32_e32 v11, vcc, 0, v11, vcc
	v_cmp_gt_i32_e32 vcc, 31, v10
	v_cndmask_b32_e32 v9, v0, v9, vcc
	v_cmp_gt_i32_e32 vcc, 31, v12
	v_lshl_or_b32 v3, v3, 9, v0
	v_cndmask_b32_e32 v11, v0, v11, vcc
	v_cmp_eq_u32_e32 vcc, s18, v10
	v_lshrrev_b32_e32 v4, 16, v4
	v_lshl_or_b32 v7, v7, 9, v0
	v_cndmask_b32_e32 v3, v9, v3, vcc
	v_cmp_eq_u32_e32 vcc, s18, v12
	v_lshrrev_b32_e32 v8, 16, v8
	v_cndmask_b32_e32 v7, v11, v7, vcc
	v_and_or_b32 v3, v4, s17, v3
	v_and_or_b32 v4, v8, s17, v7
	v_and_b32_e32 v3, 0xffff, v3
	v_lshl_or_b32 v3, v4, 16, v3
	global_store_dword v[5:6], v3, off
	global_load_dword v7, v25, s[6:7] offset:308
	ds_read2_b32 v[3:4], v21 offset0:77 offset1:84
	v_add_co_u32_e32 v5, vcc, s11, v5
	s_waitcnt lgkmcnt(0)
	v_lshrrev_b32_e32 v8, 16, v3
	s_waitcnt vmcnt(0)
	v_mul_f16_sdwa v9, v8, v7 dst_sel:DWORD dst_unused:UNUSED_PAD src0_sel:DWORD src1_sel:WORD_1
	v_fma_f16 v9, v3, v7, v9
	v_mul_f16_sdwa v3, v3, v7 dst_sel:DWORD dst_unused:UNUSED_PAD src0_sel:DWORD src1_sel:WORD_1
	v_cvt_f32_f16_e32 v9, v9
	v_fma_f16 v3, v7, v8, -v3
	v_cvt_f32_f16_e32 v3, v3
	v_cvt_f64_f32_e32 v[7:8], v9
	v_cvt_f64_f32_e32 v[9:10], v3
	v_mov_b32_e32 v3, s12
	v_mul_f64 v[7:8], v[7:8], s[14:15]
	v_addc_co_u32_e32 v6, vcc, v6, v3, vcc
	v_mul_f64 v[9:10], v[9:10], s[14:15]
	v_and_or_b32 v3, v8, s16, v7
	v_cmp_ne_u32_e32 vcc, 0, v3
	v_lshrrev_b32_e32 v7, 8, v8
	v_and_or_b32 v9, v10, s16, v9
	v_bfe_u32 v11, v8, 20, 11
	v_cndmask_b32_e64 v3, 0, 1, vcc
	v_cmp_ne_u32_e32 vcc, 0, v9
	v_lshrrev_b32_e32 v12, 8, v10
	v_bfe_u32 v13, v10, 20, 11
	v_sub_u32_e32 v14, 0x3f1, v11
	v_cndmask_b32_e64 v9, 0, 1, vcc
	v_and_or_b32 v3, v7, s10, v3
	v_sub_u32_e32 v15, 0x3f1, v13
	v_med3_i32 v7, v14, 0, 13
	v_and_or_b32 v9, v12, s10, v9
	v_or_b32_e32 v14, 0x1000, v3
	v_add_u32_e32 v11, 0xfffffc10, v11
	v_med3_i32 v12, v15, 0, 13
	v_cmp_ne_u32_e32 vcc, 0, v3
	v_or_b32_e32 v16, 0x1000, v9
	v_lshrrev_b32_e32 v18, v7, v14
	v_add_u32_e32 v13, 0xfffffc10, v13
	v_lshl_or_b32 v15, v11, 12, v3
	v_cndmask_b32_e64 v3, 0, 1, vcc
	v_cmp_ne_u32_e32 vcc, 0, v9
	v_lshrrev_b32_e32 v19, v12, v16
	v_lshlrev_b32_e32 v7, v7, v18
	v_lshl_or_b32 v17, v13, 12, v9
	v_cndmask_b32_e64 v9, 0, 1, vcc
	v_lshlrev_b32_e32 v12, v12, v19
	v_cmp_ne_u32_e32 vcc, v7, v14
	v_cndmask_b32_e64 v7, 0, 1, vcc
	v_cmp_ne_u32_e32 vcc, v12, v16
	v_cndmask_b32_e64 v12, 0, 1, vcc
	v_or_b32_e32 v7, v18, v7
	v_cmp_gt_i32_e32 vcc, 1, v11
	v_cndmask_b32_e32 v7, v15, v7, vcc
	v_or_b32_e32 v12, v19, v12
	v_cmp_gt_i32_e32 vcc, 1, v13
	v_and_b32_e32 v14, 7, v7
	v_cndmask_b32_e32 v12, v17, v12, vcc
	v_cmp_lt_i32_e32 vcc, 5, v14
	v_cmp_eq_u32_e64 s[0:1], 3, v14
	v_lshrrev_b32_e32 v7, 2, v7
	v_and_b32_e32 v15, 7, v12
	s_or_b64 vcc, s[0:1], vcc
	v_cmp_lt_i32_e64 s[2:3], 5, v15
	v_cmp_eq_u32_e64 s[4:5], 3, v15
	v_addc_co_u32_e32 v7, vcc, 0, v7, vcc
	v_lshrrev_b32_e32 v12, 2, v12
	s_or_b64 vcc, s[4:5], s[2:3]
	v_addc_co_u32_e32 v12, vcc, 0, v12, vcc
	v_cmp_gt_i32_e32 vcc, 31, v11
	v_cndmask_b32_e32 v7, v0, v7, vcc
	v_cmp_gt_i32_e32 vcc, 31, v13
	v_lshl_or_b32 v3, v3, 9, v0
	v_cndmask_b32_e32 v12, v0, v12, vcc
	v_cmp_eq_u32_e32 vcc, s18, v11
	v_lshrrev_b32_e32 v8, 16, v8
	v_lshl_or_b32 v9, v9, 9, v0
	v_cndmask_b32_e32 v3, v7, v3, vcc
	v_cmp_eq_u32_e32 vcc, s18, v13
	v_lshrrev_b32_e32 v10, 16, v10
	v_cndmask_b32_e32 v7, v12, v9, vcc
	v_and_or_b32 v3, v8, s17, v3
	v_and_or_b32 v7, v10, s17, v7
	v_and_b32_e32 v3, 0xffff, v3
	v_lshl_or_b32 v3, v7, 16, v3
	global_store_dword v[5:6], v3, off
	global_load_dword v3, v25, s[6:7] offset:336
	v_lshrrev_b32_e32 v7, 16, v4
	v_mov_b32_e32 v9, s12
	v_add_co_u32_e32 v5, vcc, s11, v5
	v_addc_co_u32_e32 v6, vcc, v6, v9, vcc
	s_waitcnt vmcnt(0)
	v_mul_f16_sdwa v8, v7, v3 dst_sel:DWORD dst_unused:UNUSED_PAD src0_sel:DWORD src1_sel:WORD_1
	v_fma_f16 v8, v4, v3, v8
	v_mul_f16_sdwa v4, v4, v3 dst_sel:DWORD dst_unused:UNUSED_PAD src0_sel:DWORD src1_sel:WORD_1
	v_cvt_f32_f16_e32 v8, v8
	v_fma_f16 v3, v3, v7, -v4
	v_cvt_f32_f16_e32 v7, v3
	v_cvt_f64_f32_e32 v[3:4], v8
	v_cvt_f64_f32_e32 v[7:8], v7
	v_mul_f64 v[3:4], v[3:4], s[14:15]
	v_mul_f64 v[7:8], v[7:8], s[14:15]
	v_and_or_b32 v3, v4, s16, v3
	v_cmp_ne_u32_e32 vcc, 0, v3
	v_and_or_b32 v7, v8, s16, v7
	v_lshrrev_b32_e32 v9, 8, v4
	v_bfe_u32 v10, v4, 20, 11
	v_cndmask_b32_e64 v3, 0, 1, vcc
	v_cmp_ne_u32_e32 vcc, 0, v7
	v_lshrrev_b32_e32 v11, 8, v8
	v_bfe_u32 v12, v8, 20, 11
	v_sub_u32_e32 v13, 0x3f1, v10
	v_cndmask_b32_e64 v7, 0, 1, vcc
	v_and_or_b32 v3, v9, s10, v3
	v_sub_u32_e32 v14, 0x3f1, v12
	v_med3_i32 v9, v13, 0, 13
	v_and_or_b32 v7, v11, s10, v7
	v_or_b32_e32 v13, 0x1000, v3
	v_add_u32_e32 v10, 0xfffffc10, v10
	v_med3_i32 v11, v14, 0, 13
	v_cmp_ne_u32_e32 vcc, 0, v3
	v_or_b32_e32 v15, 0x1000, v7
	v_lshrrev_b32_e32 v17, v9, v13
	v_add_u32_e32 v12, 0xfffffc10, v12
	v_lshl_or_b32 v14, v10, 12, v3
	v_cndmask_b32_e64 v3, 0, 1, vcc
	v_cmp_ne_u32_e32 vcc, 0, v7
	v_lshrrev_b32_e32 v18, v11, v15
	v_lshlrev_b32_e32 v9, v9, v17
	v_lshl_or_b32 v16, v12, 12, v7
	v_cndmask_b32_e64 v7, 0, 1, vcc
	v_lshlrev_b32_e32 v11, v11, v18
	v_cmp_ne_u32_e32 vcc, v9, v13
	v_cndmask_b32_e64 v9, 0, 1, vcc
	v_cmp_ne_u32_e32 vcc, v11, v15
	v_cndmask_b32_e64 v11, 0, 1, vcc
	v_or_b32_e32 v9, v17, v9
	v_cmp_gt_i32_e32 vcc, 1, v10
	v_cndmask_b32_e32 v9, v14, v9, vcc
	v_or_b32_e32 v11, v18, v11
	v_cmp_gt_i32_e32 vcc, 1, v12
	v_and_b32_e32 v13, 7, v9
	v_cndmask_b32_e32 v11, v16, v11, vcc
	v_cmp_lt_i32_e32 vcc, 5, v13
	v_cmp_eq_u32_e64 s[0:1], 3, v13
	v_lshrrev_b32_e32 v9, 2, v9
	v_and_b32_e32 v14, 7, v11
	s_or_b64 vcc, s[0:1], vcc
	v_cmp_lt_i32_e64 s[2:3], 5, v14
	v_cmp_eq_u32_e64 s[4:5], 3, v14
	v_addc_co_u32_e32 v9, vcc, 0, v9, vcc
	v_lshrrev_b32_e32 v11, 2, v11
	s_or_b64 vcc, s[4:5], s[2:3]
	v_addc_co_u32_e32 v11, vcc, 0, v11, vcc
	v_cmp_gt_i32_e32 vcc, 31, v10
	v_cndmask_b32_e32 v9, v0, v9, vcc
	v_cmp_gt_i32_e32 vcc, 31, v12
	v_lshl_or_b32 v3, v3, 9, v0
	v_cndmask_b32_e32 v11, v0, v11, vcc
	v_cmp_eq_u32_e32 vcc, s18, v10
	v_lshrrev_b32_e32 v4, 16, v4
	v_lshl_or_b32 v7, v7, 9, v0
	v_cndmask_b32_e32 v3, v9, v3, vcc
	v_cmp_eq_u32_e32 vcc, s18, v12
	v_lshrrev_b32_e32 v8, 16, v8
	v_cndmask_b32_e32 v7, v11, v7, vcc
	v_and_or_b32 v3, v4, s17, v3
	v_and_or_b32 v4, v8, s17, v7
	v_and_b32_e32 v3, 0xffff, v3
	v_lshl_or_b32 v3, v4, 16, v3
	global_store_dword v[5:6], v3, off
	global_load_dword v7, v25, s[6:7] offset:364
	ds_read2_b32 v[3:4], v21 offset0:91 offset1:98
	v_add_co_u32_e32 v5, vcc, s11, v5
	s_waitcnt lgkmcnt(0)
	v_lshrrev_b32_e32 v8, 16, v3
	s_waitcnt vmcnt(0)
	v_mul_f16_sdwa v9, v8, v7 dst_sel:DWORD dst_unused:UNUSED_PAD src0_sel:DWORD src1_sel:WORD_1
	v_fma_f16 v9, v3, v7, v9
	v_mul_f16_sdwa v3, v3, v7 dst_sel:DWORD dst_unused:UNUSED_PAD src0_sel:DWORD src1_sel:WORD_1
	v_cvt_f32_f16_e32 v9, v9
	v_fma_f16 v3, v7, v8, -v3
	v_cvt_f32_f16_e32 v3, v3
	v_cvt_f64_f32_e32 v[7:8], v9
	v_cvt_f64_f32_e32 v[9:10], v3
	v_mov_b32_e32 v3, s12
	v_mul_f64 v[7:8], v[7:8], s[14:15]
	v_addc_co_u32_e32 v6, vcc, v6, v3, vcc
	v_mul_f64 v[9:10], v[9:10], s[14:15]
	v_and_or_b32 v3, v8, s16, v7
	v_cmp_ne_u32_e32 vcc, 0, v3
	v_lshrrev_b32_e32 v7, 8, v8
	v_and_or_b32 v9, v10, s16, v9
	v_bfe_u32 v11, v8, 20, 11
	v_cndmask_b32_e64 v3, 0, 1, vcc
	v_cmp_ne_u32_e32 vcc, 0, v9
	v_lshrrev_b32_e32 v12, 8, v10
	v_bfe_u32 v13, v10, 20, 11
	v_sub_u32_e32 v14, 0x3f1, v11
	v_cndmask_b32_e64 v9, 0, 1, vcc
	v_and_or_b32 v3, v7, s10, v3
	v_sub_u32_e32 v15, 0x3f1, v13
	v_med3_i32 v7, v14, 0, 13
	v_and_or_b32 v9, v12, s10, v9
	v_or_b32_e32 v14, 0x1000, v3
	v_add_u32_e32 v11, 0xfffffc10, v11
	v_med3_i32 v12, v15, 0, 13
	v_cmp_ne_u32_e32 vcc, 0, v3
	v_or_b32_e32 v16, 0x1000, v9
	v_lshrrev_b32_e32 v18, v7, v14
	v_add_u32_e32 v13, 0xfffffc10, v13
	v_lshl_or_b32 v15, v11, 12, v3
	v_cndmask_b32_e64 v3, 0, 1, vcc
	v_cmp_ne_u32_e32 vcc, 0, v9
	v_lshrrev_b32_e32 v19, v12, v16
	v_lshlrev_b32_e32 v7, v7, v18
	v_lshl_or_b32 v17, v13, 12, v9
	v_cndmask_b32_e64 v9, 0, 1, vcc
	v_lshlrev_b32_e32 v12, v12, v19
	v_cmp_ne_u32_e32 vcc, v7, v14
	v_cndmask_b32_e64 v7, 0, 1, vcc
	v_cmp_ne_u32_e32 vcc, v12, v16
	v_cndmask_b32_e64 v12, 0, 1, vcc
	v_or_b32_e32 v7, v18, v7
	v_cmp_gt_i32_e32 vcc, 1, v11
	v_cndmask_b32_e32 v7, v15, v7, vcc
	v_or_b32_e32 v12, v19, v12
	v_cmp_gt_i32_e32 vcc, 1, v13
	v_and_b32_e32 v14, 7, v7
	v_cndmask_b32_e32 v12, v17, v12, vcc
	v_cmp_lt_i32_e32 vcc, 5, v14
	v_cmp_eq_u32_e64 s[0:1], 3, v14
	v_lshrrev_b32_e32 v7, 2, v7
	v_and_b32_e32 v15, 7, v12
	s_or_b64 vcc, s[0:1], vcc
	v_cmp_lt_i32_e64 s[2:3], 5, v15
	v_cmp_eq_u32_e64 s[4:5], 3, v15
	v_addc_co_u32_e32 v7, vcc, 0, v7, vcc
	v_lshrrev_b32_e32 v12, 2, v12
	s_or_b64 vcc, s[4:5], s[2:3]
	v_addc_co_u32_e32 v12, vcc, 0, v12, vcc
	v_cmp_gt_i32_e32 vcc, 31, v11
	v_cndmask_b32_e32 v7, v0, v7, vcc
	v_cmp_gt_i32_e32 vcc, 31, v13
	v_lshl_or_b32 v3, v3, 9, v0
	v_cndmask_b32_e32 v12, v0, v12, vcc
	v_cmp_eq_u32_e32 vcc, s18, v11
	v_lshrrev_b32_e32 v8, 16, v8
	v_lshl_or_b32 v9, v9, 9, v0
	v_cndmask_b32_e32 v3, v7, v3, vcc
	v_cmp_eq_u32_e32 vcc, s18, v13
	v_lshrrev_b32_e32 v10, 16, v10
	v_cndmask_b32_e32 v7, v12, v9, vcc
	v_and_or_b32 v3, v8, s17, v3
	v_and_or_b32 v7, v10, s17, v7
	v_and_b32_e32 v3, 0xffff, v3
	v_lshl_or_b32 v3, v7, 16, v3
	global_store_dword v[5:6], v3, off
	global_load_dword v3, v25, s[6:7] offset:392
	v_lshrrev_b32_e32 v7, 16, v4
	v_mov_b32_e32 v9, s12
	v_add_co_u32_e32 v5, vcc, s11, v5
	v_addc_co_u32_e32 v6, vcc, v6, v9, vcc
	s_waitcnt vmcnt(0)
	v_mul_f16_sdwa v8, v7, v3 dst_sel:DWORD dst_unused:UNUSED_PAD src0_sel:DWORD src1_sel:WORD_1
	v_fma_f16 v8, v4, v3, v8
	v_mul_f16_sdwa v4, v4, v3 dst_sel:DWORD dst_unused:UNUSED_PAD src0_sel:DWORD src1_sel:WORD_1
	v_cvt_f32_f16_e32 v8, v8
	v_fma_f16 v3, v3, v7, -v4
	v_cvt_f32_f16_e32 v7, v3
	v_cvt_f64_f32_e32 v[3:4], v8
	v_cvt_f64_f32_e32 v[7:8], v7
	v_mul_f64 v[3:4], v[3:4], s[14:15]
	v_mul_f64 v[7:8], v[7:8], s[14:15]
	v_and_or_b32 v3, v4, s16, v3
	v_cmp_ne_u32_e32 vcc, 0, v3
	v_and_or_b32 v7, v8, s16, v7
	v_lshrrev_b32_e32 v9, 8, v4
	v_bfe_u32 v10, v4, 20, 11
	v_cndmask_b32_e64 v3, 0, 1, vcc
	v_cmp_ne_u32_e32 vcc, 0, v7
	v_lshrrev_b32_e32 v11, 8, v8
	v_bfe_u32 v12, v8, 20, 11
	v_sub_u32_e32 v13, 0x3f1, v10
	v_cndmask_b32_e64 v7, 0, 1, vcc
	v_and_or_b32 v3, v9, s10, v3
	v_sub_u32_e32 v14, 0x3f1, v12
	v_med3_i32 v9, v13, 0, 13
	v_and_or_b32 v7, v11, s10, v7
	v_or_b32_e32 v13, 0x1000, v3
	v_add_u32_e32 v10, 0xfffffc10, v10
	v_med3_i32 v11, v14, 0, 13
	v_cmp_ne_u32_e32 vcc, 0, v3
	v_or_b32_e32 v15, 0x1000, v7
	v_lshrrev_b32_e32 v17, v9, v13
	v_add_u32_e32 v12, 0xfffffc10, v12
	v_lshl_or_b32 v14, v10, 12, v3
	v_cndmask_b32_e64 v3, 0, 1, vcc
	v_cmp_ne_u32_e32 vcc, 0, v7
	v_lshrrev_b32_e32 v18, v11, v15
	v_lshlrev_b32_e32 v9, v9, v17
	v_lshl_or_b32 v16, v12, 12, v7
	v_cndmask_b32_e64 v7, 0, 1, vcc
	v_lshlrev_b32_e32 v11, v11, v18
	v_cmp_ne_u32_e32 vcc, v9, v13
	v_cndmask_b32_e64 v9, 0, 1, vcc
	v_cmp_ne_u32_e32 vcc, v11, v15
	v_cndmask_b32_e64 v11, 0, 1, vcc
	v_or_b32_e32 v9, v17, v9
	v_cmp_gt_i32_e32 vcc, 1, v10
	v_cndmask_b32_e32 v9, v14, v9, vcc
	v_or_b32_e32 v11, v18, v11
	v_cmp_gt_i32_e32 vcc, 1, v12
	v_and_b32_e32 v13, 7, v9
	v_cndmask_b32_e32 v11, v16, v11, vcc
	v_cmp_lt_i32_e32 vcc, 5, v13
	v_cmp_eq_u32_e64 s[0:1], 3, v13
	v_lshrrev_b32_e32 v9, 2, v9
	v_and_b32_e32 v14, 7, v11
	s_or_b64 vcc, s[0:1], vcc
	v_cmp_lt_i32_e64 s[2:3], 5, v14
	v_cmp_eq_u32_e64 s[4:5], 3, v14
	v_addc_co_u32_e32 v9, vcc, 0, v9, vcc
	v_lshrrev_b32_e32 v11, 2, v11
	s_or_b64 vcc, s[4:5], s[2:3]
	v_addc_co_u32_e32 v11, vcc, 0, v11, vcc
	v_cmp_gt_i32_e32 vcc, 31, v10
	v_cndmask_b32_e32 v9, v0, v9, vcc
	v_cmp_gt_i32_e32 vcc, 31, v12
	v_lshl_or_b32 v3, v3, 9, v0
	v_cndmask_b32_e32 v11, v0, v11, vcc
	v_cmp_eq_u32_e32 vcc, s18, v10
	v_lshrrev_b32_e32 v4, 16, v4
	v_lshl_or_b32 v7, v7, 9, v0
	v_cndmask_b32_e32 v3, v9, v3, vcc
	v_cmp_eq_u32_e32 vcc, s18, v12
	v_lshrrev_b32_e32 v8, 16, v8
	v_cndmask_b32_e32 v7, v11, v7, vcc
	v_and_or_b32 v3, v4, s17, v3
	v_and_or_b32 v4, v8, s17, v7
	v_and_b32_e32 v3, 0xffff, v3
	v_lshl_or_b32 v3, v4, 16, v3
	global_store_dword v[5:6], v3, off
	global_load_dword v7, v25, s[6:7] offset:420
	ds_read2_b32 v[3:4], v21 offset0:105 offset1:112
	v_add_co_u32_e32 v5, vcc, s11, v5
	s_waitcnt lgkmcnt(0)
	v_lshrrev_b32_e32 v8, 16, v3
	s_waitcnt vmcnt(0)
	v_mul_f16_sdwa v9, v8, v7 dst_sel:DWORD dst_unused:UNUSED_PAD src0_sel:DWORD src1_sel:WORD_1
	v_fma_f16 v9, v3, v7, v9
	v_mul_f16_sdwa v3, v3, v7 dst_sel:DWORD dst_unused:UNUSED_PAD src0_sel:DWORD src1_sel:WORD_1
	v_cvt_f32_f16_e32 v9, v9
	v_fma_f16 v3, v7, v8, -v3
	v_cvt_f32_f16_e32 v3, v3
	v_cvt_f64_f32_e32 v[7:8], v9
	v_cvt_f64_f32_e32 v[9:10], v3
	v_mov_b32_e32 v3, s12
	v_mul_f64 v[7:8], v[7:8], s[14:15]
	v_addc_co_u32_e32 v6, vcc, v6, v3, vcc
	v_mul_f64 v[9:10], v[9:10], s[14:15]
	v_and_or_b32 v3, v8, s16, v7
	v_cmp_ne_u32_e32 vcc, 0, v3
	v_lshrrev_b32_e32 v7, 8, v8
	v_and_or_b32 v9, v10, s16, v9
	v_bfe_u32 v11, v8, 20, 11
	v_cndmask_b32_e64 v3, 0, 1, vcc
	v_cmp_ne_u32_e32 vcc, 0, v9
	v_lshrrev_b32_e32 v12, 8, v10
	v_bfe_u32 v13, v10, 20, 11
	v_sub_u32_e32 v14, 0x3f1, v11
	v_cndmask_b32_e64 v9, 0, 1, vcc
	v_and_or_b32 v3, v7, s10, v3
	v_sub_u32_e32 v15, 0x3f1, v13
	v_med3_i32 v7, v14, 0, 13
	v_and_or_b32 v9, v12, s10, v9
	v_or_b32_e32 v14, 0x1000, v3
	v_add_u32_e32 v11, 0xfffffc10, v11
	v_med3_i32 v12, v15, 0, 13
	v_cmp_ne_u32_e32 vcc, 0, v3
	v_or_b32_e32 v16, 0x1000, v9
	v_lshrrev_b32_e32 v18, v7, v14
	v_add_u32_e32 v13, 0xfffffc10, v13
	v_lshl_or_b32 v15, v11, 12, v3
	v_cndmask_b32_e64 v3, 0, 1, vcc
	v_cmp_ne_u32_e32 vcc, 0, v9
	v_lshrrev_b32_e32 v19, v12, v16
	v_lshlrev_b32_e32 v7, v7, v18
	v_lshl_or_b32 v17, v13, 12, v9
	v_cndmask_b32_e64 v9, 0, 1, vcc
	v_lshlrev_b32_e32 v12, v12, v19
	v_cmp_ne_u32_e32 vcc, v7, v14
	v_cndmask_b32_e64 v7, 0, 1, vcc
	v_cmp_ne_u32_e32 vcc, v12, v16
	v_cndmask_b32_e64 v12, 0, 1, vcc
	v_or_b32_e32 v7, v18, v7
	v_cmp_gt_i32_e32 vcc, 1, v11
	v_cndmask_b32_e32 v7, v15, v7, vcc
	v_or_b32_e32 v12, v19, v12
	v_cmp_gt_i32_e32 vcc, 1, v13
	v_and_b32_e32 v14, 7, v7
	v_cndmask_b32_e32 v12, v17, v12, vcc
	v_cmp_lt_i32_e32 vcc, 5, v14
	v_cmp_eq_u32_e64 s[0:1], 3, v14
	v_lshrrev_b32_e32 v7, 2, v7
	v_and_b32_e32 v15, 7, v12
	s_or_b64 vcc, s[0:1], vcc
	v_cmp_lt_i32_e64 s[2:3], 5, v15
	v_cmp_eq_u32_e64 s[4:5], 3, v15
	v_addc_co_u32_e32 v7, vcc, 0, v7, vcc
	v_lshrrev_b32_e32 v12, 2, v12
	s_or_b64 vcc, s[4:5], s[2:3]
	v_addc_co_u32_e32 v12, vcc, 0, v12, vcc
	v_cmp_gt_i32_e32 vcc, 31, v11
	v_cndmask_b32_e32 v7, v0, v7, vcc
	v_cmp_gt_i32_e32 vcc, 31, v13
	v_lshl_or_b32 v3, v3, 9, v0
	v_cndmask_b32_e32 v12, v0, v12, vcc
	v_cmp_eq_u32_e32 vcc, s18, v11
	v_lshrrev_b32_e32 v8, 16, v8
	v_lshl_or_b32 v9, v9, 9, v0
	v_cndmask_b32_e32 v3, v7, v3, vcc
	v_cmp_eq_u32_e32 vcc, s18, v13
	v_lshrrev_b32_e32 v10, 16, v10
	v_cndmask_b32_e32 v7, v12, v9, vcc
	v_and_or_b32 v3, v8, s17, v3
	v_and_or_b32 v7, v10, s17, v7
	v_and_b32_e32 v3, 0xffff, v3
	v_lshl_or_b32 v3, v7, 16, v3
	global_store_dword v[5:6], v3, off
	global_load_dword v3, v25, s[6:7] offset:448
	v_lshrrev_b32_e32 v7, 16, v4
	v_or_b32_e32 v9, 0x70, v24
	v_mad_u64_u32 v[5:6], s[0:1], s8, v9, 0
	s_waitcnt vmcnt(0)
	v_mul_f16_sdwa v8, v7, v3 dst_sel:DWORD dst_unused:UNUSED_PAD src0_sel:DWORD src1_sel:WORD_1
	v_fma_f16 v8, v4, v3, v8
	v_mul_f16_sdwa v4, v4, v3 dst_sel:DWORD dst_unused:UNUSED_PAD src0_sel:DWORD src1_sel:WORD_1
	v_cvt_f32_f16_e32 v8, v8
	v_fma_f16 v3, v3, v7, -v4
	v_cvt_f32_f16_e32 v7, v3
	v_cvt_f64_f32_e32 v[3:4], v8
	v_cvt_f64_f32_e32 v[7:8], v7
	v_mul_f64 v[3:4], v[3:4], s[14:15]
	v_mad_u64_u32 v[9:10], s[0:1], s9, v9, v[6:7]
	v_mul_f64 v[7:8], v[7:8], s[14:15]
	v_mov_b32_e32 v6, v9
	v_lshlrev_b64 v[5:6], 2, v[5:6]
	v_and_or_b32 v3, v4, s16, v3
	v_cmp_ne_u32_e32 vcc, 0, v3
	v_lshrrev_b32_e32 v9, 8, v4
	v_bfe_u32 v10, v4, 20, 11
	v_and_or_b32 v7, v8, s16, v7
	v_cndmask_b32_e64 v3, 0, 1, vcc
	v_cmp_ne_u32_e32 vcc, 0, v7
	v_lshrrev_b32_e32 v11, 8, v8
	v_bfe_u32 v12, v8, 20, 11
	v_sub_u32_e32 v13, 0x3f1, v10
	v_cndmask_b32_e64 v7, 0, 1, vcc
	v_and_or_b32 v3, v9, s10, v3
	v_sub_u32_e32 v14, 0x3f1, v12
	v_med3_i32 v9, v13, 0, 13
	v_and_or_b32 v7, v11, s10, v7
	v_or_b32_e32 v13, 0x1000, v3
	v_add_u32_e32 v10, 0xfffffc10, v10
	v_med3_i32 v11, v14, 0, 13
	v_cmp_ne_u32_e32 vcc, 0, v3
	v_or_b32_e32 v15, 0x1000, v7
	v_lshrrev_b32_e32 v17, v9, v13
	v_add_u32_e32 v12, 0xfffffc10, v12
	v_lshl_or_b32 v14, v10, 12, v3
	v_cndmask_b32_e64 v3, 0, 1, vcc
	v_cmp_ne_u32_e32 vcc, 0, v7
	v_lshrrev_b32_e32 v18, v11, v15
	v_lshlrev_b32_e32 v9, v9, v17
	v_lshl_or_b32 v16, v12, 12, v7
	v_cndmask_b32_e64 v7, 0, 1, vcc
	v_lshlrev_b32_e32 v11, v11, v18
	v_cmp_ne_u32_e32 vcc, v9, v13
	v_cndmask_b32_e64 v9, 0, 1, vcc
	v_cmp_ne_u32_e32 vcc, v11, v15
	v_cndmask_b32_e64 v11, 0, 1, vcc
	v_or_b32_e32 v9, v17, v9
	v_cmp_gt_i32_e32 vcc, 1, v10
	v_cndmask_b32_e32 v9, v14, v9, vcc
	v_or_b32_e32 v11, v18, v11
	v_cmp_gt_i32_e32 vcc, 1, v12
	v_and_b32_e32 v13, 7, v9
	v_cndmask_b32_e32 v11, v16, v11, vcc
	v_cmp_lt_i32_e32 vcc, 5, v13
	v_cmp_eq_u32_e64 s[0:1], 3, v13
	v_lshrrev_b32_e32 v9, 2, v9
	v_and_b32_e32 v14, 7, v11
	s_or_b64 vcc, s[0:1], vcc
	v_cmp_lt_i32_e64 s[2:3], 5, v14
	v_cmp_eq_u32_e64 s[4:5], 3, v14
	v_addc_co_u32_e32 v9, vcc, 0, v9, vcc
	v_lshrrev_b32_e32 v11, 2, v11
	s_or_b64 vcc, s[4:5], s[2:3]
	v_addc_co_u32_e32 v11, vcc, 0, v11, vcc
	v_cmp_gt_i32_e32 vcc, 31, v10
	v_cndmask_b32_e32 v9, v0, v9, vcc
	v_cmp_gt_i32_e32 vcc, 31, v12
	v_lshl_or_b32 v3, v3, 9, v0
	v_lshl_or_b32 v7, v7, 9, v0
	v_cndmask_b32_e32 v0, v0, v11, vcc
	v_cmp_eq_u32_e32 vcc, s18, v10
	v_lshrrev_b32_e32 v4, 16, v4
	v_cndmask_b32_e32 v3, v9, v3, vcc
	v_cmp_eq_u32_e32 vcc, s18, v12
	v_lshrrev_b32_e32 v8, 16, v8
	v_cndmask_b32_e32 v0, v0, v7, vcc
	v_and_or_b32 v3, v4, s17, v3
	v_and_or_b32 v0, v8, s17, v0
	v_and_b32_e32 v3, 0xffff, v3
	v_lshl_or_b32 v3, v0, 16, v3
	v_add_co_u32_e32 v0, vcc, v1, v5
	v_addc_co_u32_e32 v1, vcc, v2, v6, vcc
	global_store_dword v[0:1], v3, off
.LBB0_15:
	s_endpgm
	.section	.rodata,"a",@progbits
	.p2align	6, 0x0
	.amdhsa_kernel bluestein_single_back_len119_dim1_half_op_CI_CI
		.amdhsa_group_segment_fixed_size 7140
		.amdhsa_private_segment_fixed_size 0
		.amdhsa_kernarg_size 104
		.amdhsa_user_sgpr_count 6
		.amdhsa_user_sgpr_private_segment_buffer 1
		.amdhsa_user_sgpr_dispatch_ptr 0
		.amdhsa_user_sgpr_queue_ptr 0
		.amdhsa_user_sgpr_kernarg_segment_ptr 1
		.amdhsa_user_sgpr_dispatch_id 0
		.amdhsa_user_sgpr_flat_scratch_init 0
		.amdhsa_user_sgpr_private_segment_size 0
		.amdhsa_uses_dynamic_stack 0
		.amdhsa_system_sgpr_private_segment_wavefront_offset 0
		.amdhsa_system_sgpr_workgroup_id_x 1
		.amdhsa_system_sgpr_workgroup_id_y 0
		.amdhsa_system_sgpr_workgroup_id_z 0
		.amdhsa_system_sgpr_workgroup_info 0
		.amdhsa_system_vgpr_workitem_id 0
		.amdhsa_next_free_vgpr 251
		.amdhsa_next_free_sgpr 35
		.amdhsa_reserve_vcc 1
		.amdhsa_reserve_flat_scratch 0
		.amdhsa_float_round_mode_32 0
		.amdhsa_float_round_mode_16_64 0
		.amdhsa_float_denorm_mode_32 3
		.amdhsa_float_denorm_mode_16_64 3
		.amdhsa_dx10_clamp 1
		.amdhsa_ieee_mode 1
		.amdhsa_fp16_overflow 0
		.amdhsa_exception_fp_ieee_invalid_op 0
		.amdhsa_exception_fp_denorm_src 0
		.amdhsa_exception_fp_ieee_div_zero 0
		.amdhsa_exception_fp_ieee_overflow 0
		.amdhsa_exception_fp_ieee_underflow 0
		.amdhsa_exception_fp_ieee_inexact 0
		.amdhsa_exception_int_div_zero 0
	.end_amdhsa_kernel
	.text
.Lfunc_end0:
	.size	bluestein_single_back_len119_dim1_half_op_CI_CI, .Lfunc_end0-bluestein_single_back_len119_dim1_half_op_CI_CI
                                        ; -- End function
	.section	.AMDGPU.csdata,"",@progbits
; Kernel info:
; codeLenInByte = 23948
; NumSgprs: 39
; NumVgprs: 251
; ScratchSize: 0
; MemoryBound: 0
; FloatMode: 240
; IeeeMode: 1
; LDSByteSize: 7140 bytes/workgroup (compile time only)
; SGPRBlocks: 4
; VGPRBlocks: 62
; NumSGPRsForWavesPerEU: 39
; NumVGPRsForWavesPerEU: 251
; Occupancy: 1
; WaveLimiterHint : 1
; COMPUTE_PGM_RSRC2:SCRATCH_EN: 0
; COMPUTE_PGM_RSRC2:USER_SGPR: 6
; COMPUTE_PGM_RSRC2:TRAP_HANDLER: 0
; COMPUTE_PGM_RSRC2:TGID_X_EN: 1
; COMPUTE_PGM_RSRC2:TGID_Y_EN: 0
; COMPUTE_PGM_RSRC2:TGID_Z_EN: 0
; COMPUTE_PGM_RSRC2:TIDIG_COMP_CNT: 0
	.type	__hip_cuid_ff0df0e2c04fd35e,@object ; @__hip_cuid_ff0df0e2c04fd35e
	.section	.bss,"aw",@nobits
	.globl	__hip_cuid_ff0df0e2c04fd35e
__hip_cuid_ff0df0e2c04fd35e:
	.byte	0                               ; 0x0
	.size	__hip_cuid_ff0df0e2c04fd35e, 1

	.ident	"AMD clang version 19.0.0git (https://github.com/RadeonOpenCompute/llvm-project roc-6.4.0 25133 c7fe45cf4b819c5991fe208aaa96edf142730f1d)"
	.section	".note.GNU-stack","",@progbits
	.addrsig
	.addrsig_sym __hip_cuid_ff0df0e2c04fd35e
	.amdgpu_metadata
---
amdhsa.kernels:
  - .args:
      - .actual_access:  read_only
        .address_space:  global
        .offset:         0
        .size:           8
        .value_kind:     global_buffer
      - .actual_access:  read_only
        .address_space:  global
        .offset:         8
        .size:           8
        .value_kind:     global_buffer
      - .actual_access:  read_only
        .address_space:  global
        .offset:         16
        .size:           8
        .value_kind:     global_buffer
      - .actual_access:  read_only
        .address_space:  global
        .offset:         24
        .size:           8
        .value_kind:     global_buffer
      - .actual_access:  read_only
        .address_space:  global
        .offset:         32
        .size:           8
        .value_kind:     global_buffer
      - .offset:         40
        .size:           8
        .value_kind:     by_value
      - .address_space:  global
        .offset:         48
        .size:           8
        .value_kind:     global_buffer
      - .address_space:  global
        .offset:         56
        .size:           8
        .value_kind:     global_buffer
      - .address_space:  global
        .offset:         64
        .size:           8
        .value_kind:     global_buffer
      - .address_space:  global
        .offset:         72
        .size:           8
        .value_kind:     global_buffer
      - .offset:         80
        .size:           4
        .value_kind:     by_value
      - .address_space:  global
        .offset:         88
        .size:           8
        .value_kind:     global_buffer
      - .address_space:  global
        .offset:         96
        .size:           8
        .value_kind:     global_buffer
    .group_segment_fixed_size: 7140
    .kernarg_segment_align: 8
    .kernarg_segment_size: 104
    .language:       OpenCL C
    .language_version:
      - 2
      - 0
    .max_flat_workgroup_size: 255
    .name:           bluestein_single_back_len119_dim1_half_op_CI_CI
    .private_segment_fixed_size: 0
    .sgpr_count:     39
    .sgpr_spill_count: 0
    .symbol:         bluestein_single_back_len119_dim1_half_op_CI_CI.kd
    .uniform_work_group_size: 1
    .uses_dynamic_stack: false
    .vgpr_count:     251
    .vgpr_spill_count: 0
    .wavefront_size: 64
amdhsa.target:   amdgcn-amd-amdhsa--gfx906
amdhsa.version:
  - 1
  - 2
...

	.end_amdgpu_metadata
